;; amdgpu-corpus repo=ROCm/rocFFT kind=compiled arch=gfx906 opt=O3
	.text
	.amdgcn_target "amdgcn-amd-amdhsa--gfx906"
	.amdhsa_code_object_version 6
	.protected	bluestein_single_fwd_len238_dim1_dp_op_CI_CI ; -- Begin function bluestein_single_fwd_len238_dim1_dp_op_CI_CI
	.globl	bluestein_single_fwd_len238_dim1_dp_op_CI_CI
	.p2align	8
	.type	bluestein_single_fwd_len238_dim1_dp_op_CI_CI,@function
bluestein_single_fwd_len238_dim1_dp_op_CI_CI: ; @bluestein_single_fwd_len238_dim1_dp_op_CI_CI
; %bb.0:
	s_mov_b64 s[62:63], s[2:3]
	v_mul_u32_u24_e32 v1, 0xf10, v0
	s_mov_b64 s[60:61], s[0:1]
	s_load_dwordx4 s[0:3], s[4:5], 0x28
	v_lshrrev_b32_e32 v1, 16, v1
	s_add_u32 s60, s60, s7
	v_mad_u64_u32 v[156:157], s[6:7], s6, 3, v[1:2]
	v_mov_b32_e32 v157, 0
	s_addc_u32 s61, s61, 0
	s_waitcnt lgkmcnt(0)
	v_cmp_gt_u64_e32 vcc, s[0:1], v[156:157]
	s_and_saveexec_b64 s[0:1], vcc
	s_cbranch_execz .LBB0_15
; %bb.1:
	s_mov_b32 s0, 0xaaaaaaab
	v_mul_hi_u32 v2, v156, s0
	v_mul_lo_u16_e32 v1, 17, v1
	s_load_dwordx2 s[12:13], s[4:5], 0x0
	s_load_dwordx2 s[14:15], s[4:5], 0x38
	v_sub_u16_e32 v255, v0, v1
	v_lshrrev_b32_e32 v0, 1, v2
	v_lshl_add_u32 v0, v0, 1, v0
	v_sub_u32_e32 v0, v156, v0
	v_mul_u32_u24_e32 v228, 0xee, v0
	v_cmp_gt_u16_e32 vcc, 14, v255
	v_lshlrev_b32_e32 v227, 4, v255
	v_lshlrev_b32_e32 v150, 4, v228
	s_and_saveexec_b64 s[6:7], vcc
	s_cbranch_execz .LBB0_3
; %bb.2:
	s_load_dwordx2 s[0:1], s[4:5], 0x18
	v_or_b32_e32 v62, 0x70, v255
	v_mov_b32_e32 v70, 0x1c0
	v_or_b32_e32 v121, 0xe0, v255
	s_waitcnt lgkmcnt(0)
	s_load_dwordx4 s[8:11], s[0:1], 0x0
	s_waitcnt lgkmcnt(0)
	v_mad_u64_u32 v[0:1], s[0:1], s10, v156, 0
	v_mad_u64_u32 v[2:3], s[0:1], s8, v255, 0
	;; [unrolled: 1-line block ×4, first 2 shown]
	v_mov_b32_e32 v1, v4
	v_lshlrev_b64 v[0:1], 4, v[0:1]
	v_mov_b32_e32 v3, v5
	v_mov_b32_e32 v6, s3
	v_lshlrev_b64 v[2:3], 4, v[2:3]
	v_add_co_u32_e64 v16, s[0:1], s2, v0
	v_addc_co_u32_e64 v17, s[0:1], v6, v1, s[0:1]
	v_add_co_u32_e64 v18, s[0:1], v16, v2
	v_addc_co_u32_e64 v19, s[0:1], v17, v3, s[0:1]
	s_mul_i32 s0, s9, 0xe0
	s_mul_hi_u32 s3, s8, 0xe0
	s_add_i32 s3, s3, s0
	s_mul_i32 s2, s8, 0xe0
	v_mov_b32_e32 v0, s3
	v_add_co_u32_e64 v20, s[0:1], s2, v18
	v_addc_co_u32_e64 v21, s[0:1], v19, v0, s[0:1]
	global_load_dwordx4 v[0:3], v[18:19], off
	global_load_dwordx4 v[4:7], v[20:21], off
	global_load_dwordx4 v[8:11], v227, s[12:13]
	global_load_dwordx4 v[12:15], v227, s[12:13] offset:224
	v_mov_b32_e32 v18, s3
	v_add_co_u32_e64 v34, s[0:1], s2, v20
	v_addc_co_u32_e64 v35, s[0:1], v21, v18, s[0:1]
	v_add_co_u32_e64 v36, s[0:1], s2, v34
	v_addc_co_u32_e64 v37, s[0:1], v35, v18, s[0:1]
	global_load_dwordx4 v[18:21], v[34:35], off
	global_load_dwordx4 v[22:25], v[36:37], off
	global_load_dwordx4 v[26:29], v227, s[12:13] offset:448
	global_load_dwordx4 v[30:33], v227, s[12:13] offset:672
	v_mov_b32_e32 v34, s3
	v_add_co_u32_e64 v38, s[0:1], s2, v36
	v_addc_co_u32_e64 v39, s[0:1], v37, v34, s[0:1]
	v_mov_b32_e32 v40, s3
	v_add_co_u32_e64 v58, s[0:1], s2, v38
	v_addc_co_u32_e64 v59, s[0:1], v39, v40, s[0:1]
	v_mad_u64_u32 v[60:61], s[0:1], s8, v62, 0
	v_mov_b32_e32 v63, s3
	v_mov_b32_e32 v64, s3
	v_mad_u64_u32 v[61:62], s[0:1], s9, v62, v[61:62]
	v_add_co_u32_e64 v62, s[0:1], s2, v58
	v_addc_co_u32_e64 v63, s[0:1], v59, v63, s[0:1]
	v_add_co_u32_e64 v68, s[0:1], s2, v62
	v_lshlrev_b64 v[66:67], 4, v[60:61]
	v_addc_co_u32_e64 v69, s[0:1], v63, v64, s[0:1]
	v_mad_u64_u32 v[82:83], s[0:1], s8, v70, v[68:69]
	v_add_co_u32_e64 v66, s[0:1], v16, v66
	global_load_dwordx4 v[34:37], v[38:39], off
	v_addc_co_u32_e64 v67, s[0:1], v17, v67, s[0:1]
	global_load_dwordx4 v[38:41], v227, s[12:13] offset:896
	global_load_dwordx4 v[42:45], v227, s[12:13] offset:1120
	s_mul_i32 s0, s9, 0x1c0
	v_add_u32_e32 v83, s0, v83
	v_mov_b32_e32 v84, s3
	v_add_co_u32_e64 v86, s[0:1], s2, v82
	v_addc_co_u32_e64 v87, s[0:1], v83, v84, s[0:1]
	v_mov_b32_e32 v88, s3
	v_add_co_u32_e64 v98, s[0:1], s2, v86
	v_addc_co_u32_e64 v99, s[0:1], v87, v88, s[0:1]
	global_load_dwordx4 v[46:49], v[58:59], off
	global_load_dwordx4 v[50:53], v227, s[12:13] offset:1344
	global_load_dwordx4 v[54:57], v227, s[12:13] offset:1568
	v_mov_b32_e32 v100, s3
	global_load_dwordx4 v[58:61], v[62:63], off
	v_add_co_u32_e64 v102, s[0:1], s2, v98
	global_load_dwordx4 v[62:65], v[68:69], off
	v_addc_co_u32_e64 v103, s[0:1], v99, v100, s[0:1]
	global_load_dwordx4 v[66:69], v[66:67], off
	v_mov_b32_e32 v104, s3
	v_add_co_u32_e64 v114, s[0:1], s2, v102
	global_load_dwordx4 v[70:73], v[82:83], off
	global_load_dwordx4 v[74:77], v227, s[12:13] offset:1792
	global_load_dwordx4 v[78:81], v227, s[12:13] offset:2016
	v_addc_co_u32_e64 v115, s[0:1], v103, v104, s[0:1]
	v_mov_b32_e32 v116, s3
	v_add_co_u32_e64 v118, s[0:1], s2, v114
	v_addc_co_u32_e64 v119, s[0:1], v115, v116, s[0:1]
	v_mad_u64_u32 v[130:131], s[0:1], s8, v121, 0
	global_load_dwordx4 v[82:85], v[86:87], off
	s_nop 0
	global_load_dwordx4 v[86:89], v[98:99], off
	global_load_dwordx4 v[90:93], v227, s[12:13] offset:2240
	global_load_dwordx4 v[94:97], v227, s[12:13] offset:2464
	v_mov_b32_e32 v120, s3
	global_load_dwordx4 v[98:101], v[102:103], off
	s_nop 0
	global_load_dwordx4 v[102:105], v[114:115], off
	global_load_dwordx4 v[106:109], v227, s[12:13] offset:2688
	global_load_dwordx4 v[110:113], v227, s[12:13] offset:2912
	s_waitcnt vmcnt(24)
	v_mul_f64 v[138:139], v[6:7], v[14:15]
	global_load_dwordx4 v[114:117], v[118:119], off
	v_add_co_u32_e64 v118, s[0:1], s2, v118
	v_addc_co_u32_e64 v119, s[0:1], v119, v120, s[0:1]
	v_mov_b32_e32 v120, v131
	v_mad_u64_u32 v[131:132], s[0:1], s9, v121, v[120:121]
	global_load_dwordx4 v[118:121], v[118:119], off
	s_nop 0
	global_load_dwordx4 v[122:125], v227, s[12:13] offset:3136
	global_load_dwordx4 v[126:129], v227, s[12:13] offset:3360
	s_waitcnt vmcnt(25)
	v_mul_f64 v[140:141], v[20:21], v[28:29]
	v_lshlrev_b64 v[130:131], 4, v[130:131]
	v_mul_f64 v[28:29], v[18:19], v[28:29]
	v_add_co_u32_e64 v16, s[0:1], v16, v130
	v_addc_co_u32_e64 v17, s[0:1], v17, v131, s[0:1]
	global_load_dwordx4 v[130:133], v[16:17], off
	global_load_dwordx4 v[134:137], v227, s[12:13] offset:3584
	v_mul_f64 v[16:17], v[2:3], v[10:11]
	v_mul_f64 v[10:11], v[0:1], v[10:11]
	;; [unrolled: 1-line block ×3, first 2 shown]
	s_waitcnt vmcnt(26)
	v_mul_f64 v[142:143], v[24:25], v[32:33]
	v_mul_f64 v[32:33], v[22:23], v[32:33]
	v_fma_f64 v[4:5], v[4:5], v[12:13], v[138:139]
	v_fma_f64 v[0:1], v[0:1], v[8:9], v[16:17]
	v_fma_f64 v[2:3], v[2:3], v[8:9], -v[10:11]
	v_fma_f64 v[8:9], v[18:19], v[26:27], v[140:141]
	v_fma_f64 v[10:11], v[20:21], v[26:27], -v[28:29]
	v_fma_f64 v[6:7], v[6:7], v[12:13], -v[14:15]
	v_fma_f64 v[12:13], v[22:23], v[30:31], v[142:143]
	v_fma_f64 v[14:15], v[24:25], v[30:31], -v[32:33]
	s_waitcnt vmcnt(24)
	v_mul_f64 v[144:145], v[36:37], v[40:41]
	v_mul_f64 v[40:41], v[34:35], v[40:41]
	v_fma_f64 v[16:17], v[34:35], v[38:39], v[144:145]
	v_fma_f64 v[18:19], v[36:37], v[38:39], -v[40:41]
	v_add_u32_e32 v38, v150, v227
	s_waitcnt vmcnt(22)
	v_mul_f64 v[146:147], v[48:49], v[44:45]
	v_mul_f64 v[44:45], v[46:47], v[44:45]
	s_waitcnt vmcnt(19)
	v_mul_f64 v[26:27], v[60:61], v[52:53]
	v_mul_f64 v[28:29], v[58:59], v[52:53]
	;; [unrolled: 3-line block ×3, first 2 shown]
	v_fma_f64 v[20:21], v[46:47], v[42:43], v[146:147]
	v_fma_f64 v[22:23], v[48:49], v[42:43], -v[44:45]
	v_fma_f64 v[24:25], v[58:59], v[50:51], v[26:27]
	s_waitcnt vmcnt(15)
	v_mul_f64 v[34:35], v[68:69], v[76:77]
	v_mul_f64 v[36:37], v[66:67], v[76:77]
	v_fma_f64 v[26:27], v[60:61], v[50:51], -v[28:29]
	v_lshl_add_u32 v28, v255, 4, v150
	ds_write_b128 v28, v[0:3]
	v_fma_f64 v[0:1], v[62:63], v[54:55], v[30:31]
	v_fma_f64 v[2:3], v[64:65], v[54:55], -v[32:33]
	v_fma_f64 v[28:29], v[66:67], v[74:75], v[34:35]
	v_fma_f64 v[30:31], v[68:69], v[74:75], -v[36:37]
	ds_write_b128 v38, v[4:7] offset:224
	ds_write_b128 v38, v[8:11] offset:448
	;; [unrolled: 1-line block ×8, first 2 shown]
	s_waitcnt vmcnt(14)
	v_mul_f64 v[0:1], v[72:73], v[80:81]
	v_mul_f64 v[2:3], v[70:71], v[80:81]
	s_waitcnt vmcnt(11)
	v_mul_f64 v[4:5], v[84:85], v[92:93]
	v_mul_f64 v[6:7], v[82:83], v[92:93]
	;; [unrolled: 3-line block ×5, first 2 shown]
	v_fma_f64 v[0:1], v[70:71], v[78:79], v[0:1]
	v_fma_f64 v[2:3], v[72:73], v[78:79], -v[2:3]
	v_fma_f64 v[4:5], v[82:83], v[90:91], v[4:5]
	s_waitcnt vmcnt(3)
	v_mul_f64 v[20:21], v[116:117], v[124:125]
	v_mul_f64 v[22:23], v[114:115], v[124:125]
	s_waitcnt vmcnt(2)
	v_mul_f64 v[24:25], v[120:121], v[128:129]
	v_mul_f64 v[26:27], v[118:119], v[128:129]
	v_fma_f64 v[6:7], v[84:85], v[90:91], -v[6:7]
	v_fma_f64 v[8:9], v[86:87], v[94:95], v[8:9]
	v_fma_f64 v[10:11], v[88:89], v[94:95], -v[10:11]
	v_fma_f64 v[12:13], v[98:99], v[106:107], v[12:13]
	v_fma_f64 v[14:15], v[100:101], v[106:107], -v[14:15]
	s_waitcnt vmcnt(0)
	v_mul_f64 v[28:29], v[132:133], v[136:137]
	v_mul_f64 v[30:31], v[130:131], v[136:137]
	v_fma_f64 v[16:17], v[102:103], v[110:111], v[16:17]
	v_fma_f64 v[18:19], v[104:105], v[110:111], -v[18:19]
	v_fma_f64 v[20:21], v[114:115], v[122:123], v[20:21]
	v_fma_f64 v[22:23], v[116:117], v[122:123], -v[22:23]
	;; [unrolled: 2-line block ×4, first 2 shown]
	ds_write_b128 v38, v[0:3] offset:2016
	ds_write_b128 v38, v[4:7] offset:2240
	;; [unrolled: 1-line block ×8, first 2 shown]
.LBB0_3:
	s_or_b64 exec, exec, s[6:7]
	s_load_dwordx2 s[2:3], s[4:5], 0x20
	s_load_dwordx2 s[0:1], s[4:5], 0x8
	s_waitcnt lgkmcnt(0)
	; wave barrier
	s_waitcnt lgkmcnt(0)
                                        ; implicit-def: $vgpr12_vgpr13
                                        ; implicit-def: $vgpr72_vgpr73
                                        ; implicit-def: $vgpr76_vgpr77
                                        ; implicit-def: $vgpr68_vgpr69
                                        ; implicit-def: $vgpr64_vgpr65
                                        ; implicit-def: $vgpr60_vgpr61
                                        ; implicit-def: $vgpr56_vgpr57
                                        ; implicit-def: $vgpr16_vgpr17
                                        ; implicit-def: $vgpr20_vgpr21
                                        ; implicit-def: $vgpr24_vgpr25
                                        ; implicit-def: $vgpr28_vgpr29
                                        ; implicit-def: $vgpr32_vgpr33
                                        ; implicit-def: $vgpr36_vgpr37
                                        ; implicit-def: $vgpr40_vgpr41
                                        ; implicit-def: $vgpr44_vgpr45
                                        ; implicit-def: $vgpr48_vgpr49
                                        ; implicit-def: $vgpr52_vgpr53
	s_and_saveexec_b64 s[4:5], vcc
	s_cbranch_execz .LBB0_5
; %bb.4:
	v_lshl_add_u32 v0, v228, 4, v227
	ds_read_b128 v[12:15], v0
	ds_read_b128 v[72:75], v0 offset:224
	ds_read_b128 v[76:79], v0 offset:448
	;; [unrolled: 1-line block ×16, first 2 shown]
.LBB0_5:
	s_or_b64 exec, exec, s[4:5]
	s_waitcnt lgkmcnt(0)
	v_add_f64 v[120:121], v[74:75], -v[54:55]
	s_mov_b32 s16, 0x5d8e7cdc
	s_mov_b32 s17, 0xbfd71e95
	v_add_f64 v[118:119], v[72:73], -v[52:53]
	v_add_f64 v[102:103], v[72:73], v[52:53]
	v_add_f64 v[130:131], v[78:79], -v[50:51]
	s_mov_b32 s4, 0x370991
	s_mov_b32 s10, 0x2a9d6da3
	v_mul_f64 v[82:83], v[120:121], s[16:17]
	s_mov_b32 s5, 0x3fedd6d0
	s_mov_b32 s11, 0xbfe58eea
	v_add_f64 v[104:105], v[74:75], v[54:55]
	v_add_f64 v[128:129], v[76:77], -v[48:49]
	v_add_f64 v[112:113], v[76:77], v[48:49]
	v_mul_f64 v[86:87], v[118:119], s[16:17]
	v_mul_f64 v[84:85], v[130:131], s[10:11]
	v_fma_f64 v[0:1], v[102:103], s[4:5], v[82:83]
	v_add_f64 v[144:145], v[70:71], -v[46:47]
	s_mov_b32 s6, 0x75d4884
	s_mov_b32 s22, 0x7c9e640b
	;; [unrolled: 1-line block ×4, first 2 shown]
	v_add_f64 v[114:115], v[78:79], v[50:51]
	v_add_f64 v[140:141], v[68:69], -v[44:45]
	v_fma_f64 v[2:3], v[104:105], s[4:5], -v[86:87]
	v_mul_f64 v[90:91], v[128:129], s[10:11]
	v_add_f64 v[0:1], v[12:13], v[0:1]
	v_fma_f64 v[4:5], v[112:113], s[6:7], v[84:85]
	v_add_f64 v[124:125], v[68:69], v[44:45]
	v_mul_f64 v[88:89], v[144:145], s[22:23]
	v_add_f64 v[154:155], v[66:67], -v[42:43]
	s_mov_b32 s8, 0x2b2883cd
	s_mov_b32 s26, 0xeb564b22
	;; [unrolled: 1-line block ×4, first 2 shown]
	v_add_f64 v[2:3], v[14:15], v[2:3]
	v_fma_f64 v[6:7], v[114:115], s[6:7], -v[90:91]
	v_add_f64 v[126:127], v[70:71], v[46:47]
	v_mul_f64 v[92:93], v[140:141], s[22:23]
	v_add_f64 v[0:1], v[4:5], v[0:1]
	v_fma_f64 v[4:5], v[124:125], s[8:9], v[88:89]
	v_add_f64 v[134:135], v[64:65], v[40:41]
	v_mul_f64 v[94:95], v[154:155], s[26:27]
	v_add_f64 v[159:160], v[64:65], -v[40:41]
	s_mov_b32 s18, 0x3259b75e
	s_mov_b32 s19, 0x3fb79ee6
	v_add_f64 v[2:3], v[6:7], v[2:3]
	v_fma_f64 v[6:7], v[126:127], s[8:9], -v[92:93]
	v_add_f64 v[0:1], v[4:5], v[0:1]
	v_add_f64 v[138:139], v[66:67], v[42:43]
	v_fma_f64 v[4:5], v[134:135], s[18:19], v[94:95]
	v_mul_f64 v[98:99], v[159:160], s[26:27]
	v_add_f64 v[173:174], v[62:63], -v[38:39]
	s_mov_b32 s30, 0x923c349f
	s_mov_b32 s31, 0x3feec746
	;; [unrolled: 1-line block ×4, first 2 shown]
	v_add_f64 v[2:3], v[6:7], v[2:3]
	v_add_f64 v[0:1], v[4:5], v[0:1]
	v_fma_f64 v[4:5], v[138:139], s[18:19], -v[98:99]
	v_add_f64 v[148:149], v[60:61], v[36:37]
	v_mul_f64 v[100:101], v[173:174], s[34:35]
	v_add_f64 v[171:172], v[60:61], -v[36:37]
	s_mov_b32 s20, 0xc61f0d01
	s_mov_b32 s21, 0xbfd183b1
	v_add_f64 v[152:153], v[62:63], v[38:39]
	v_add_f64 v[189:190], v[58:59], -v[34:35]
	v_add_f64 v[2:3], v[4:5], v[2:3]
	s_mov_b32 s38, 0x6c9a05f6
	v_fma_f64 v[4:5], v[148:149], s[20:21], v[100:101]
	v_mul_f64 v[106:107], v[171:172], s[34:35]
	s_mov_b32 s39, 0xbfe9895b
	v_add_f64 v[165:166], v[56:57], v[32:33]
	v_add_f64 v[187:188], v[56:57], -v[32:33]
	v_mul_f64 v[108:109], v[189:190], s[38:39]
	s_mov_b32 s24, 0x6ed5f1bb
	s_mov_b32 s25, 0xbfe348c8
	v_add_f64 v[0:1], v[4:5], v[0:1]
	v_fma_f64 v[4:5], v[152:153], s[20:21], -v[106:107]
	v_add_f64 v[167:168], v[58:59], v[34:35]
	v_add_f64 v[205:206], v[18:19], -v[30:31]
	v_mul_f64 v[110:111], v[187:188], s[38:39]
	s_mov_b32 s42, 0x4363dd80
	s_mov_b32 s43, 0x3fe0d888
	;; [unrolled: 1-line block ×4, first 2 shown]
	v_add_f64 v[2:3], v[4:5], v[2:3]
	v_fma_f64 v[4:5], v[165:166], s[24:25], v[108:109]
	v_add_f64 v[169:170], v[16:17], v[28:29]
	v_mul_f64 v[116:117], v[205:206], s[40:41]
	v_add_f64 v[203:204], v[16:17], -v[28:29]
	s_mov_b32 s28, 0x910ea3b9
	s_mov_b32 s29, 0xbfeb34fa
	v_add_f64 v[177:178], v[18:19], v[30:31]
	v_add_f64 v[181:182], v[22:23], -v[26:27]
	v_add_f64 v[0:1], v[4:5], v[0:1]
	v_fma_f64 v[4:5], v[167:168], s[24:25], -v[110:111]
	s_mov_b32 s48, 0xacd6c6b4
	v_mul_f64 v[122:123], v[203:204], s[40:41]
	s_mov_b32 s49, 0x3fc7851a
	s_mov_b32 s47, 0xbfc7851a
	;; [unrolled: 1-line block ×3, first 2 shown]
	v_add_f64 v[175:176], v[20:21], v[24:25]
	v_mul_f64 v[132:133], v[181:182], s[46:47]
	v_add_f64 v[2:3], v[4:5], v[2:3]
	v_fma_f64 v[4:5], v[169:170], s[28:29], v[116:117]
	v_add_f64 v[207:208], v[20:21], -v[24:25]
	s_mov_b32 s36, 0x7faef3
	s_mov_b32 s37, 0xbfef7484
	v_add_f64 v[179:180], v[22:23], v[26:27]
	v_mul_f64 v[142:143], v[130:131], s[26:27]
	v_mul_f64 v[209:210], v[118:119], s[10:11]
	v_mul_f64 v[211:212], v[128:129], s[26:27]
	v_add_f64 v[0:1], v[4:5], v[0:1]
	v_fma_f64 v[4:5], v[177:178], s[28:29], -v[122:123]
	v_mul_f64 v[136:137], v[207:208], s[46:47]
	v_mul_f64 v[191:192], v[144:145], s[38:39]
	;; [unrolled: 1-line block ×3, first 2 shown]
	v_fma_f64 v[6:7], v[112:113], s[18:19], v[142:143]
	v_mul_f64 v[199:200], v[154:155], s[46:47]
	v_fma_f64 v[8:9], v[114:115], s[18:19], -v[211:212]
	v_mul_f64 v[223:224], v[159:160], s[46:47]
	v_add_f64 v[2:3], v[4:5], v[2:3]
	v_fma_f64 v[4:5], v[175:176], s[36:37], v[132:133]
	v_mul_f64 v[201:202], v[173:174], s[42:43]
	v_mul_f64 v[221:222], v[171:172], s[42:43]
	;; [unrolled: 1-line block ×4, first 2 shown]
	s_mov_b32 s55, 0x3feca52d
	s_mov_b32 s54, s22
	v_mul_f64 v[195:196], v[205:206], s[54:55]
	v_add_f64 v[161:162], v[4:5], v[0:1]
	v_fma_f64 v[4:5], v[179:180], s[36:37], -v[136:137]
	v_mul_f64 v[213:214], v[203:204], s[54:55]
	s_mov_b32 s53, 0x3fd71e95
	s_mov_b32 s52, s16
	v_mul_f64 v[197:198], v[181:182], s[52:53]
	v_mul_f64 v[217:218], v[207:208], s[52:53]
	;; [unrolled: 1-line block ×4, first 2 shown]
	v_add_f64 v[163:164], v[4:5], v[2:3]
	v_mul_f64 v[2:3], v[120:121], s[10:11]
	v_mul_f64 v[241:242], v[118:119], s[22:23]
	;; [unrolled: 1-line block ×6, first 2 shown]
	v_fma_f64 v[10:11], v[112:113], s[24:25], v[225:226]
	v_mul_f64 v[249:250], v[159:160], s[30:31]
	v_fma_f64 v[4:5], v[102:103], s[6:7], v[2:3]
	s_mov_b32 s51, 0x3fe58eea
	v_fma_f64 v[80:81], v[114:115], s[24:25], -v[243:244]
	s_mov_b32 s50, s10
	v_mul_f64 v[233:234], v[173:174], s[50:51]
	v_mul_f64 v[251:252], v[171:172], s[50:51]
	;; [unrolled: 1-line block ×4, first 2 shown]
	v_add_f64 v[4:5], v[12:13], v[4:5]
	v_mul_f64 v[235:236], v[205:206], s[26:27]
	v_mul_f64 v[96:97], v[203:204], s[26:27]
	;; [unrolled: 1-line block ×4, first 2 shown]
	s_waitcnt lgkmcnt(0)
	; wave barrier
	v_add_f64 v[4:5], v[6:7], v[4:5]
	v_fma_f64 v[6:7], v[104:105], s[6:7], -v[209:210]
	v_add_f64 v[6:7], v[14:15], v[6:7]
	v_add_f64 v[6:7], v[8:9], v[6:7]
	v_fma_f64 v[8:9], v[124:125], s[24:25], v[191:192]
	v_add_f64 v[4:5], v[8:9], v[4:5]
	v_fma_f64 v[8:9], v[126:127], s[24:25], -v[215:216]
	v_add_f64 v[6:7], v[8:9], v[6:7]
	v_fma_f64 v[8:9], v[134:135], s[36:37], v[199:200]
	v_add_f64 v[4:5], v[8:9], v[4:5]
	v_fma_f64 v[8:9], v[138:139], s[36:37], -v[223:224]
	;; [unrolled: 4-line block ×6, first 2 shown]
	v_add_f64 v[185:186], v[8:9], v[6:7]
	v_fma_f64 v[8:9], v[102:103], s[8:9], v[0:1]
	v_add_f64 v[8:9], v[12:13], v[8:9]
	v_add_f64 v[8:9], v[10:11], v[8:9]
	v_fma_f64 v[10:11], v[104:105], s[8:9], -v[241:242]
	v_add_f64 v[10:11], v[14:15], v[10:11]
	v_add_f64 v[10:11], v[80:81], v[10:11]
	v_fma_f64 v[80:81], v[124:125], s[36:37], v[229:230]
	v_add_f64 v[8:9], v[80:81], v[8:9]
	v_fma_f64 v[80:81], v[126:127], s[36:37], -v[247:248]
	v_add_f64 v[10:11], v[80:81], v[10:11]
	v_fma_f64 v[80:81], v[134:135], s[20:21], v[237:238]
	v_add_f64 v[8:9], v[80:81], v[8:9]
	v_fma_f64 v[80:81], v[138:139], s[20:21], -v[249:250]
	;; [unrolled: 4-line block ×6, first 2 shown]
	v_add_f64 v[6:7], v[80:81], v[10:11]
	s_and_saveexec_b64 s[44:45], vcc
	s_cbranch_execz .LBB0_7
; %bb.6:
	buffer_store_dword v84, off, s[60:63], 0 offset:16 ; 4-byte Folded Spill
	s_nop 0
	buffer_store_dword v85, off, s[60:63], 0 offset:20 ; 4-byte Folded Spill
	v_mul_f64 v[84:85], v[104:105], s[36:37]
	buffer_store_dword v86, off, s[60:63], 0 offset:32 ; 4-byte Folded Spill
	s_nop 0
	buffer_store_dword v87, off, s[60:63], 0 offset:36 ; 4-byte Folded Spill
	v_mul_f64 v[86:87], v[114:115], s[4:5]
	buffer_store_dword v82, off, s[60:63], 0 offset:24 ; 4-byte Folded Spill
	s_nop 0
	buffer_store_dword v83, off, s[60:63], 0 offset:28 ; 4-byte Folded Spill
	buffer_store_dword v88, off, s[60:63], 0 offset:96 ; 4-byte Folded Spill
	s_nop 0
	buffer_store_dword v89, off, s[60:63], 0 offset:100 ; 4-byte Folded Spill
	v_mul_f64 v[88:89], v[120:121], s[46:47]
	buffer_store_dword v90, off, s[60:63], 0 offset:208 ; 4-byte Folded Spill
	s_nop 0
	buffer_store_dword v91, off, s[60:63], 0 offset:212 ; 4-byte Folded Spill
	v_mul_f64 v[90:91], v[130:131], s[52:53]
	v_fma_f64 v[80:81], v[118:119], s[48:49], v[84:85]
	buffer_store_dword v92, off, s[60:63], 0 offset:192 ; 4-byte Folded Spill
	s_nop 0
	buffer_store_dword v93, off, s[60:63], 0 offset:196 ; 4-byte Folded Spill
	v_fma_f64 v[82:83], v[128:129], s[16:17], v[86:87]
	buffer_store_dword v94, off, s[60:63], 0 offset:112 ; 4-byte Folded Spill
	s_nop 0
	buffer_store_dword v95, off, s[60:63], 0 offset:116 ; 4-byte Folded Spill
	buffer_store_dword v98, off, s[60:63], 0 offset:176 ; 4-byte Folded Spill
	s_nop 0
	buffer_store_dword v99, off, s[60:63], 0 offset:180 ; 4-byte Folded Spill
	;; [unrolled: 3-line block ×4, first 2 shown]
	v_fma_f64 v[92:93], v[112:113], s[4:5], v[90:91]
	v_add_f64 v[80:81], v[14:15], v[80:81]
	v_fma_f64 v[84:85], v[118:119], s[46:47], v[84:85]
	s_mov_b32 s57, 0x3fe9895b
	s_mov_b32 s56, s38
	buffer_store_dword v108, off, s[60:63], 0 offset:72 ; 4-byte Folded Spill
	s_nop 0
	buffer_store_dword v109, off, s[60:63], 0 offset:76 ; 4-byte Folded Spill
	v_fma_f64 v[86:87], v[128:129], s[52:53], v[86:87]
	buffer_store_dword v110, off, s[60:63], 0 offset:160 ; 4-byte Folded Spill
	s_nop 0
	buffer_store_dword v111, off, s[60:63], 0 offset:164 ; 4-byte Folded Spill
	buffer_store_dword v116, off, s[60:63], 0 offset:48 ; 4-byte Folded Spill
	s_nop 0
	buffer_store_dword v117, off, s[60:63], 0 offset:52 ; 4-byte Folded Spill
	v_add_f64 v[80:81], v[82:83], v[80:81]
	v_fma_f64 v[82:83], v[102:103], s[36:37], v[88:89]
	v_add_f64 v[84:85], v[14:15], v[84:85]
	buffer_store_dword v122, off, s[60:63], 0 offset:128 ; 4-byte Folded Spill
	s_nop 0
	buffer_store_dword v123, off, s[60:63], 0 offset:132 ; 4-byte Folded Spill
	buffer_store_dword v132, off, s[60:63], 0 offset:40 ; 4-byte Folded Spill
	s_nop 0
	buffer_store_dword v133, off, s[60:63], 0 offset:44 ; 4-byte Folded Spill
	;; [unrolled: 3-line block ×3, first 2 shown]
	s_mov_b32 s59, 0x3fefdd0d
	s_mov_b32 s58, s26
	buffer_store_dword v142, off, s[60:63], 0 offset:216 ; 4-byte Folded Spill
	s_nop 0
	buffer_store_dword v143, off, s[60:63], 0 offset:220 ; 4-byte Folded Spill
	v_add_f64 v[82:83], v[12:13], v[82:83]
	v_add_f64 v[84:85], v[86:87], v[84:85]
	v_fma_f64 v[86:87], v[102:103], s[36:37], -v[88:89]
	v_fma_f64 v[88:89], v[112:113], s[4:5], -v[90:91]
	v_mul_f64 v[142:143], v[179:180], s[18:19]
	v_mul_f64 v[146:147], v[181:182], s[58:59]
	buffer_store_dword v2, off, s[60:63], 0 offset:224 ; 4-byte Folded Spill
	s_nop 0
	buffer_store_dword v3, off, s[60:63], 0 offset:228 ; 4-byte Folded Spill
	v_mov_b32_e32 v2, v150
	v_add_f64 v[82:83], v[92:93], v[82:83]
	v_mul_f64 v[92:93], v[126:127], s[28:29]
	v_add_f64 v[86:87], v[12:13], v[86:87]
	buffer_store_dword v4, off, s[60:63], 0 ; 4-byte Folded Spill
	s_nop 0
	buffer_store_dword v5, off, s[60:63], 0 offset:4 ; 4-byte Folded Spill
	buffer_store_dword v6, off, s[60:63], 0 offset:8 ; 4-byte Folded Spill
	;; [unrolled: 1-line block ×3, first 2 shown]
	v_mov_b32_e32 v3, v161
	v_fma_f64 v[90:91], v[175:176], s[18:19], -v[146:147]
	v_mov_b32_e32 v4, v162
	v_mov_b32_e32 v5, v163
	;; [unrolled: 1-line block ×3, first 2 shown]
	v_fma_f64 v[94:95], v[140:141], s[42:43], v[92:93]
	v_add_f64 v[86:87], v[88:89], v[86:87]
	v_fma_f64 v[88:89], v[140:141], s[40:41], v[92:93]
	v_mul_f64 v[92:93], v[104:105], s[28:29]
	v_mul_f64 v[161:162], v[179:180], s[20:21]
	;; [unrolled: 1-line block ×3, first 2 shown]
	v_add_f64 v[72:73], v[12:13], v[72:73]
	v_add_f64 v[74:75], v[14:15], v[74:75]
	;; [unrolled: 1-line block ×3, first 2 shown]
	v_mul_f64 v[94:95], v[144:145], s[40:41]
	v_add_f64 v[84:85], v[88:89], v[84:85]
	v_mov_b32_e32 v7, v183
	v_mov_b32_e32 v8, v184
	v_mov_b32_e32 v9, v185
	v_add_f64 v[76:77], v[72:73], v[76:77]
	v_add_f64 v[78:79], v[74:75], v[78:79]
	v_mov_b32_e32 v10, v186
	v_fma_f64 v[98:99], v[124:125], s[28:29], v[94:95]
	v_fma_f64 v[88:89], v[124:125], s[28:29], -v[94:95]
	v_mul_f64 v[94:95], v[114:115], s[8:9]
	v_mul_f64 v[183:184], v[179:180], s[8:9]
	v_mul_f64 v[185:186], v[181:182], s[54:55]
	v_add_f64 v[76:77], v[76:77], v[68:69]
	v_add_f64 v[78:79], v[78:79], v[70:71]
	;; [unrolled: 1-line block ×3, first 2 shown]
	v_mul_f64 v[98:99], v[138:139], s[6:7]
	v_add_f64 v[86:87], v[88:89], v[86:87]
	v_add_f64 v[76:77], v[76:77], v[64:65]
	;; [unrolled: 1-line block ×3, first 2 shown]
	v_fma_f64 v[100:101], v[159:160], s[10:11], v[98:99]
	v_fma_f64 v[88:89], v[159:160], s[50:51], v[98:99]
	v_mul_f64 v[98:99], v[126:127], s[18:19]
	v_add_f64 v[76:77], v[76:77], v[60:61]
	v_add_f64 v[78:79], v[78:79], v[62:63]
	;; [unrolled: 1-line block ×3, first 2 shown]
	v_mul_f64 v[100:101], v[154:155], s[50:51]
	v_add_f64 v[84:85], v[88:89], v[84:85]
	v_add_f64 v[76:77], v[76:77], v[56:57]
	v_mul_f64 v[56:57], v[104:105], s[18:19]
	v_add_f64 v[58:59], v[78:79], v[58:59]
	v_fma_f64 v[106:107], v[134:135], s[6:7], v[100:101]
	v_add_f64 v[16:17], v[76:77], v[16:17]
	v_fma_f64 v[78:79], v[118:119], s[58:59], v[56:57]
	v_fma_f64 v[56:57], v[118:119], s[26:27], v[56:57]
	v_add_f64 v[18:19], v[58:59], v[18:19]
	v_add_f64 v[82:83], v[106:107], v[82:83]
	v_mul_f64 v[106:107], v[152:153], s[24:25]
	v_add_f64 v[16:17], v[16:17], v[20:21]
	v_add_f64 v[78:79], v[14:15], v[78:79]
	;; [unrolled: 1-line block ×4, first 2 shown]
	v_fma_f64 v[108:109], v[171:172], s[56:57], v[106:107]
	v_fma_f64 v[88:89], v[171:172], s[38:39], v[106:107]
	v_mul_f64 v[106:107], v[152:153], s[4:5]
	v_add_f64 v[16:17], v[16:17], v[24:25]
	v_add_f64 v[18:19], v[18:19], v[26:27]
	;; [unrolled: 1-line block ×3, first 2 shown]
	v_mul_f64 v[108:109], v[173:174], s[38:39]
	v_add_f64 v[84:85], v[88:89], v[84:85]
	v_add_f64 v[16:17], v[16:17], v[28:29]
	;; [unrolled: 1-line block ×3, first 2 shown]
	v_fma_f64 v[110:111], v[148:149], s[24:25], v[108:109]
	v_add_f64 v[16:17], v[16:17], v[32:33]
	v_add_f64 v[18:19], v[18:19], v[34:35]
	;; [unrolled: 1-line block ×3, first 2 shown]
	v_mul_f64 v[110:111], v[167:168], s[8:9]
	v_add_f64 v[16:17], v[16:17], v[36:37]
	v_add_f64 v[18:19], v[18:19], v[38:39]
	v_fma_f64 v[116:117], v[187:188], s[22:23], v[110:111]
	v_fma_f64 v[88:89], v[187:188], s[54:55], v[110:111]
	v_mul_f64 v[110:111], v[177:178], s[6:7]
	v_add_f64 v[18:19], v[18:19], v[42:43]
	v_add_f64 v[16:17], v[16:17], v[40:41]
	;; [unrolled: 1-line block ×3, first 2 shown]
	v_mul_f64 v[116:117], v[189:190], s[54:55]
	v_add_f64 v[84:85], v[88:89], v[84:85]
	v_add_f64 v[18:19], v[18:19], v[46:47]
	;; [unrolled: 1-line block ×3, first 2 shown]
	v_fma_f64 v[122:123], v[165:166], s[8:9], v[116:117]
	v_add_f64 v[34:35], v[18:19], v[50:51]
	v_add_f64 v[16:17], v[16:17], v[48:49]
	v_add_f64 v[82:83], v[122:123], v[82:83]
	v_mul_f64 v[122:123], v[177:178], s[20:21]
	v_fma_f64 v[88:89], v[203:204], s[34:35], v[122:123]
	v_fma_f64 v[132:133], v[203:204], s[30:31], v[122:123]
	v_mul_f64 v[122:123], v[130:131], s[54:55]
	v_add_f64 v[84:85], v[88:89], v[84:85]
	v_fma_f64 v[88:89], v[134:135], s[6:7], -v[100:101]
	v_add_f64 v[80:81], v[132:133], v[80:81]
	v_mul_f64 v[132:133], v[205:206], s[34:35]
	v_mul_f64 v[100:101], v[138:139], s[24:25]
	v_add_f64 v[86:87], v[88:89], v[86:87]
	v_fma_f64 v[88:89], v[148:149], s[24:25], -v[108:109]
	v_mul_f64 v[108:109], v[167:168], s[36:37]
	v_fma_f64 v[136:137], v[169:170], s[20:21], v[132:133]
	v_add_f64 v[86:87], v[88:89], v[86:87]
	v_fma_f64 v[88:89], v[165:166], s[8:9], -v[116:117]
	v_mul_f64 v[116:117], v[120:121], s[40:41]
	v_add_f64 v[136:137], v[136:137], v[82:83]
	v_fma_f64 v[82:83], v[207:208], s[26:27], v[142:143]
	v_add_f64 v[86:87], v[88:89], v[86:87]
	v_fma_f64 v[88:89], v[169:170], s[20:21], -v[132:133]
	v_fma_f64 v[132:133], v[112:113], s[8:9], v[122:123]
	v_add_f64 v[82:83], v[82:83], v[80:81]
	v_fma_f64 v[80:81], v[175:176], s[18:19], v[146:147]
	v_add_f64 v[88:89], v[88:89], v[86:87]
	;; [unrolled: 2-line block ×3, first 2 shown]
	v_add_f64 v[86:87], v[86:87], v[84:85]
	v_add_f64 v[84:85], v[90:91], v[88:89]
	v_fma_f64 v[88:89], v[118:119], s[42:43], v[92:93]
	v_fma_f64 v[90:91], v[128:129], s[22:23], v[94:95]
	;; [unrolled: 1-line block ×4, first 2 shown]
	v_add_f64 v[88:89], v[14:15], v[88:89]
	v_add_f64 v[92:93], v[14:15], v[92:93]
	;; [unrolled: 1-line block ×3, first 2 shown]
	v_fma_f64 v[90:91], v[140:141], s[58:59], v[98:99]
	v_add_f64 v[92:93], v[94:95], v[92:93]
	v_fma_f64 v[94:95], v[140:141], s[26:27], v[98:99]
	v_fma_f64 v[98:99], v[112:113], s[8:9], -v[122:123]
	v_mul_f64 v[122:123], v[177:178], s[36:37]
	v_add_f64 v[88:89], v[90:91], v[88:89]
	v_fma_f64 v[90:91], v[159:160], s[38:39], v[100:101]
	v_add_f64 v[92:93], v[94:95], v[92:93]
	v_fma_f64 v[94:95], v[159:160], s[56:57], v[100:101]
	v_fma_f64 v[100:101], v[175:176], s[20:21], -v[163:164]
	v_add_f64 v[88:89], v[90:91], v[88:89]
	v_fma_f64 v[90:91], v[171:172], s[52:53], v[106:107]
	v_add_f64 v[92:93], v[94:95], v[92:93]
	v_fma_f64 v[94:95], v[171:172], s[16:17], v[106:107]
	v_mul_f64 v[106:107], v[126:127], s[4:5]
	v_add_f64 v[88:89], v[90:91], v[88:89]
	v_fma_f64 v[90:91], v[187:188], s[48:49], v[108:109]
	v_add_f64 v[92:93], v[94:95], v[92:93]
	v_fma_f64 v[94:95], v[187:188], s[46:47], v[108:109]
	v_mul_f64 v[108:109], v[138:139], s[28:29]
	;; [unrolled: 5-line block ×3, first 2 shown]
	v_add_f64 v[88:89], v[90:91], v[88:89]
	v_fma_f64 v[90:91], v[102:103], s[28:29], v[116:117]
	v_add_f64 v[92:93], v[94:95], v[92:93]
	v_fma_f64 v[94:95], v[102:103], s[28:29], -v[116:117]
	v_mul_f64 v[116:117], v[167:168], s[6:7]
	v_add_f64 v[90:91], v[12:13], v[90:91]
	v_add_f64 v[94:95], v[12:13], v[94:95]
	;; [unrolled: 1-line block ×3, first 2 shown]
	v_mul_f64 v[132:133], v[144:145], s[26:27]
	v_add_f64 v[94:95], v[98:99], v[94:95]
	v_fma_f64 v[136:137], v[124:125], s[18:19], v[132:133]
	v_fma_f64 v[98:99], v[124:125], s[18:19], -v[132:133]
	v_mul_f64 v[132:133], v[120:121], s[38:39]
	v_add_f64 v[90:91], v[136:137], v[90:91]
	v_mul_f64 v[136:137], v[154:155], s[56:57]
	v_add_f64 v[94:95], v[98:99], v[94:95]
	v_fma_f64 v[142:143], v[134:135], s[24:25], v[136:137]
	v_fma_f64 v[98:99], v[134:135], s[24:25], -v[136:137]
	v_mul_f64 v[136:137], v[130:131], s[30:31]
	v_add_f64 v[90:91], v[142:143], v[90:91]
	v_mul_f64 v[142:143], v[173:174], s[16:17]
	v_add_f64 v[94:95], v[98:99], v[94:95]
	v_fma_f64 v[146:147], v[148:149], s[4:5], v[142:143]
	v_fma_f64 v[98:99], v[148:149], s[4:5], -v[142:143]
	v_fma_f64 v[142:143], v[112:113], s[20:21], v[136:137]
	v_add_f64 v[90:91], v[146:147], v[90:91]
	v_mul_f64 v[146:147], v[189:190], s[46:47]
	v_add_f64 v[94:95], v[98:99], v[94:95]
	v_fma_f64 v[150:151], v[165:166], s[36:37], v[146:147]
	v_fma_f64 v[98:99], v[165:166], s[36:37], -v[146:147]
	v_add_f64 v[90:91], v[150:151], v[90:91]
	v_mul_f64 v[150:151], v[205:206], s[50:51]
	v_add_f64 v[94:95], v[98:99], v[94:95]
	v_fma_f64 v[98:99], v[169:170], s[6:7], -v[150:151]
	v_fma_f64 v[157:158], v[169:170], s[6:7], v[150:151]
	v_add_f64 v[98:99], v[98:99], v[94:95]
	v_fma_f64 v[94:95], v[207:208], s[34:35], v[161:162]
	v_add_f64 v[157:158], v[157:158], v[90:91]
	v_fma_f64 v[90:91], v[207:208], s[30:31], v[161:162]
	v_add_f64 v[94:95], v[94:95], v[92:93]
	v_add_f64 v[92:93], v[100:101], v[98:99]
	v_mul_f64 v[98:99], v[104:105], s[24:25]
	v_mul_f64 v[100:101], v[114:115], s[20:21]
	v_add_f64 v[90:91], v[90:91], v[88:89]
	v_fma_f64 v[88:89], v[175:176], s[20:21], v[163:164]
	v_fma_f64 v[72:73], v[118:119], s[56:57], v[98:99]
	;; [unrolled: 1-line block ×5, first 2 shown]
	v_fma_f64 v[98:99], v[112:113], s[20:21], -v[136:137]
	v_add_f64 v[88:89], v[88:89], v[157:158]
	v_fma_f64 v[100:101], v[175:176], s[8:9], -v[185:186]
	v_mul_f64 v[136:137], v[130:131], s[42:43]
	v_add_f64 v[72:73], v[14:15], v[72:73]
	v_add_f64 v[68:69], v[14:15], v[68:69]
	;; [unrolled: 1-line block ×3, first 2 shown]
	v_fma_f64 v[74:75], v[140:141], s[52:53], v[106:107]
	v_add_f64 v[68:69], v[70:71], v[68:69]
	v_fma_f64 v[70:71], v[140:141], s[16:17], v[106:107]
	v_mul_f64 v[106:107], v[126:127], s[6:7]
	v_add_f64 v[72:73], v[74:75], v[72:73]
	v_fma_f64 v[74:75], v[159:160], s[42:43], v[108:109]
	v_add_f64 v[68:69], v[70:71], v[68:69]
	v_fma_f64 v[70:71], v[159:160], s[40:41], v[108:109]
	v_mul_f64 v[108:109], v[138:139], s[8:9]
	v_add_f64 v[72:73], v[74:75], v[72:73]
	;; [unrolled: 5-line block ×5, first 2 shown]
	v_fma_f64 v[74:75], v[102:103], s[24:25], v[132:133]
	v_add_f64 v[68:69], v[70:71], v[68:69]
	v_fma_f64 v[70:71], v[102:103], s[24:25], -v[132:133]
	v_mul_f64 v[132:133], v[120:121], s[34:35]
	v_mul_f64 v[120:121], v[120:121], s[26:27]
	v_add_f64 v[74:75], v[12:13], v[74:75]
	v_add_f64 v[70:71], v[12:13], v[70:71]
	;; [unrolled: 1-line block ×3, first 2 shown]
	v_mul_f64 v[142:143], v[144:145], s[16:17]
	v_add_f64 v[70:71], v[98:99], v[70:71]
	v_fma_f64 v[146:147], v[124:125], s[4:5], v[142:143]
	v_fma_f64 v[98:99], v[124:125], s[4:5], -v[142:143]
	v_fma_f64 v[142:143], v[112:113], s[28:29], v[136:137]
	v_add_f64 v[74:75], v[146:147], v[74:75]
	v_mul_f64 v[146:147], v[154:155], s[40:41]
	v_add_f64 v[70:71], v[98:99], v[70:71]
	v_fma_f64 v[150:151], v[134:135], s[28:29], v[146:147]
	v_fma_f64 v[98:99], v[134:135], s[28:29], -v[146:147]
	v_add_f64 v[74:75], v[150:151], v[74:75]
	v_mul_f64 v[150:151], v[173:174], s[58:59]
	v_add_f64 v[70:71], v[98:99], v[70:71]
	v_fma_f64 v[157:158], v[148:149], s[18:19], v[150:151]
	v_fma_f64 v[98:99], v[148:149], s[18:19], -v[150:151]
	;; [unrolled: 5-line block ×3, first 2 shown]
	v_add_f64 v[74:75], v[161:162], v[74:75]
	v_mul_f64 v[161:162], v[205:206], s[46:47]
	v_add_f64 v[70:71], v[98:99], v[70:71]
	v_fma_f64 v[98:99], v[169:170], s[36:37], -v[161:162]
	v_fma_f64 v[163:164], v[169:170], s[36:37], v[161:162]
	v_add_f64 v[98:99], v[98:99], v[70:71]
	v_fma_f64 v[70:71], v[207:208], s[54:55], v[183:184]
	v_add_f64 v[163:164], v[163:164], v[74:75]
	v_fma_f64 v[74:75], v[207:208], s[22:23], v[183:184]
	v_mul_f64 v[183:184], v[179:180], s[24:25]
	v_add_f64 v[70:71], v[70:71], v[68:69]
	v_add_f64 v[68:69], v[100:101], v[98:99]
	v_mul_f64 v[98:99], v[104:105], s[20:21]
	v_mul_f64 v[100:101], v[114:115], s[28:29]
	v_add_f64 v[74:75], v[74:75], v[72:73]
	v_fma_f64 v[72:73], v[175:176], s[8:9], v[185:186]
	v_mul_f64 v[185:186], v[181:182], s[38:39]
	v_fma_f64 v[64:65], v[118:119], s[30:31], v[98:99]
	v_fma_f64 v[66:67], v[128:129], s[40:41], v[100:101]
	;; [unrolled: 1-line block ×4, first 2 shown]
	v_fma_f64 v[98:99], v[112:113], s[28:29], -v[136:137]
	v_fma_f64 v[100:101], v[175:176], s[24:25], -v[185:186]
	v_mul_f64 v[118:119], v[173:174], s[22:23]
	v_add_f64 v[72:73], v[72:73], v[163:164]
	v_add_f64 v[64:65], v[14:15], v[64:65]
	v_add_f64 v[60:61], v[14:15], v[60:61]
	v_add_f64 v[64:65], v[66:67], v[64:65]
	v_fma_f64 v[66:67], v[140:141], s[10:11], v[106:107]
	v_add_f64 v[60:61], v[62:63], v[60:61]
	v_fma_f64 v[62:63], v[140:141], s[50:51], v[106:107]
	v_add_f64 v[64:65], v[66:67], v[64:65]
	;; [unrolled: 2-line block ×11, first 2 shown]
	v_fma_f64 v[62:63], v[102:103], s[20:21], -v[132:133]
	v_add_f64 v[66:67], v[12:13], v[66:67]
	v_add_f64 v[62:63], v[12:13], v[62:63]
	;; [unrolled: 1-line block ×3, first 2 shown]
	v_mul_f64 v[142:143], v[144:145], s[50:51]
	v_add_f64 v[62:63], v[98:99], v[62:63]
	v_fma_f64 v[146:147], v[124:125], s[6:7], v[142:143]
	v_fma_f64 v[98:99], v[124:125], s[6:7], -v[142:143]
	v_add_f64 v[66:67], v[146:147], v[66:67]
	v_mul_f64 v[146:147], v[154:155], s[22:23]
	v_add_f64 v[62:63], v[98:99], v[62:63]
	v_fma_f64 v[150:151], v[134:135], s[8:9], v[146:147]
	v_fma_f64 v[98:99], v[134:135], s[8:9], -v[146:147]
	v_mul_f64 v[146:147], v[134:135], s[18:19]
	v_add_f64 v[66:67], v[150:151], v[66:67]
	v_mul_f64 v[150:151], v[173:174], s[46:47]
	v_add_f64 v[62:63], v[98:99], v[62:63]
	v_mul_f64 v[173:174], v[181:182], s[50:51]
	v_mul_f64 v[181:182], v[179:180], s[4:5]
	v_fma_f64 v[157:158], v[148:149], s[36:37], v[150:151]
	v_fma_f64 v[98:99], v[148:149], s[36:37], -v[150:151]
	v_mul_f64 v[150:151], v[138:139], s[18:19]
	v_add_f64 v[66:67], v[157:158], v[66:67]
	v_mul_f64 v[157:158], v[189:190], s[58:59]
	v_add_f64 v[62:63], v[98:99], v[62:63]
	v_fma_f64 v[161:162], v[165:166], s[18:19], v[157:158]
	v_fma_f64 v[98:99], v[165:166], s[18:19], -v[157:158]
	v_mul_f64 v[157:158], v[152:153], s[20:21]
	v_add_f64 v[66:67], v[161:162], v[66:67]
	v_mul_f64 v[161:162], v[205:206], s[16:17]
	v_add_f64 v[62:63], v[98:99], v[62:63]
	v_fma_f64 v[98:99], v[169:170], s[4:5], -v[161:162]
	v_fma_f64 v[163:164], v[169:170], s[4:5], v[161:162]
	v_mul_f64 v[161:162], v[167:168], s[20:21]
	v_add_f64 v[98:99], v[98:99], v[62:63]
	v_fma_f64 v[62:63], v[207:208], s[38:39], v[183:184]
	v_add_f64 v[161:162], v[219:220], v[161:162]
	v_add_f64 v[163:164], v[163:164], v[66:67]
	v_fma_f64 v[66:67], v[207:208], s[56:57], v[183:184]
	v_fma_f64 v[183:184], v[175:176], s[6:7], v[173:174]
	v_fma_f64 v[173:174], v[175:176], s[6:7], -v[173:174]
	v_add_f64 v[62:63], v[62:63], v[60:61]
	v_add_f64 v[60:61], v[100:101], v[98:99]
	v_mul_f64 v[98:99], v[114:115], s[36:37]
	v_add_f64 v[66:67], v[66:67], v[64:65]
	v_fma_f64 v[64:65], v[175:176], s[24:25], v[185:186]
	v_fma_f64 v[100:101], v[128:129], s[48:49], v[98:99]
	;; [unrolled: 1-line block ×3, first 2 shown]
	v_add_f64 v[64:65], v[64:65], v[163:164]
	v_mul_f64 v[163:164], v[165:166], s[4:5]
	v_add_f64 v[78:79], v[100:101], v[78:79]
	v_mul_f64 v[100:101], v[126:127], s[20:21]
	;; [unrolled: 2-line block ×3, first 2 shown]
	v_fma_f64 v[106:107], v[140:141], s[34:35], v[100:101]
	v_fma_f64 v[100:101], v[140:141], s[30:31], v[100:101]
	;; [unrolled: 1-line block ×3, first 2 shown]
	v_fma_f64 v[98:99], v[165:166], s[28:29], -v[98:99]
	v_mul_f64 v[140:141], v[114:115], s[6:7]
	v_add_f64 v[78:79], v[106:107], v[78:79]
	v_mul_f64 v[106:107], v[138:139], s[4:5]
	v_add_f64 v[56:57], v[100:101], v[56:57]
	v_mul_f64 v[100:101], v[205:206], s[56:57]
	v_fma_f64 v[108:109], v[159:160], s[16:17], v[106:107]
	v_fma_f64 v[106:107], v[159:160], s[52:53], v[106:107]
	v_mul_f64 v[159:160], v[165:166], s[24:25]
	v_add_f64 v[78:79], v[108:109], v[78:79]
	v_mul_f64 v[108:109], v[152:153], s[8:9]
	v_add_f64 v[56:57], v[106:107], v[56:57]
	v_fma_f64 v[110:111], v[171:172], s[54:55], v[108:109]
	v_fma_f64 v[108:109], v[171:172], s[22:23], v[108:109]
	v_mul_f64 v[171:172], v[177:178], s[8:9]
	v_add_f64 v[78:79], v[110:111], v[78:79]
	v_mul_f64 v[110:111], v[167:168], s[28:29]
	v_add_f64 v[56:57], v[108:109], v[56:57]
	v_fma_f64 v[116:117], v[187:188], s[42:43], v[110:111]
	v_fma_f64 v[106:107], v[187:188], s[40:41], v[110:111]
	v_fma_f64 v[110:111], v[102:103], s[18:19], -v[120:121]
	v_add_f64 v[78:79], v[116:117], v[78:79]
	v_mul_f64 v[116:117], v[177:178], s[24:25]
	v_add_f64 v[110:111], v[12:13], v[110:111]
	v_add_f64 v[56:57], v[106:107], v[56:57]
	v_mul_f64 v[106:107], v[102:103], s[4:5]
	v_fma_f64 v[122:123], v[203:204], s[38:39], v[116:117]
	v_fma_f64 v[116:117], v[203:204], s[56:57], v[116:117]
	v_add_f64 v[78:79], v[122:123], v[78:79]
	v_mul_f64 v[122:123], v[130:131], s[46:47]
	v_fma_f64 v[130:131], v[102:103], s[18:19], v[120:121]
	v_add_f64 v[116:117], v[116:117], v[56:57]
	v_mul_f64 v[56:57], v[177:178], s[18:19]
	v_fma_f64 v[132:133], v[112:113], s[36:37], v[122:123]
	v_add_f64 v[130:131], v[12:13], v[130:131]
	v_fma_f64 v[120:121], v[112:113], s[36:37], -v[122:123]
	v_add_f64 v[96:97], v[96:97], v[56:57]
	v_add_f64 v[130:131], v[132:133], v[130:131]
	v_mul_f64 v[132:133], v[144:145], s[30:31]
	v_add_f64 v[110:111], v[120:121], v[110:111]
	v_mul_f64 v[144:145], v[124:125], s[24:25]
	v_fma_f64 v[136:137], v[124:125], s[20:21], v[132:133]
	v_fma_f64 v[120:121], v[124:125], s[20:21], -v[132:133]
	v_mul_f64 v[132:133], v[126:127], s[36:37]
	v_add_f64 v[130:131], v[136:137], v[130:131]
	v_mul_f64 v[136:137], v[154:155], s[52:53]
	v_add_f64 v[110:111], v[120:121], v[110:111]
	;; [unrolled: 2-line block ×3, first 2 shown]
	v_mul_f64 v[154:155], v[148:149], s[20:21]
	v_fma_f64 v[142:143], v[134:135], s[4:5], v[136:137]
	v_fma_f64 v[122:123], v[134:135], s[4:5], -v[136:137]
	v_add_f64 v[120:121], v[241:242], v[120:121]
	v_mul_f64 v[136:137], v[138:139], s[20:21]
	v_mul_f64 v[138:139], v[138:139], s[36:37]
	v_add_f64 v[130:131], v[142:143], v[130:131]
	v_fma_f64 v[142:143], v[148:149], s[8:9], v[118:119]
	v_add_f64 v[110:111], v[122:123], v[110:111]
	v_fma_f64 v[118:119], v[148:149], s[8:9], -v[118:119]
	v_add_f64 v[120:121], v[14:15], v[120:121]
	v_mul_f64 v[122:123], v[179:180], s[6:7]
	v_add_f64 v[138:139], v[223:224], v[138:139]
	v_add_f64 v[130:131], v[142:143], v[130:131]
	v_mul_f64 v[142:143], v[126:127], s[8:9]
	v_add_f64 v[110:111], v[118:119], v[110:111]
	v_add_f64 v[118:119], v[249:250], v[136:137]
	v_mul_f64 v[136:137], v[167:168], s[4:5]
	v_fma_f64 v[108:109], v[207:208], s[10:11], v[122:123]
	v_fma_f64 v[122:123], v[207:208], s[50:51], v[122:123]
	v_mul_f64 v[126:127], v[126:127], s[24:25]
	v_add_f64 v[128:129], v[128:129], v[130:131]
	v_fma_f64 v[130:131], v[169:170], s[24:25], v[100:101]
	v_add_f64 v[98:99], v[98:99], v[110:111]
	v_mul_f64 v[110:111], v[102:103], s[6:7]
	v_mul_f64 v[102:103], v[102:103], s[8:9]
	v_add_f64 v[56:57], v[253:254], v[136:137]
	v_mul_f64 v[136:137], v[112:113], s[18:19]
	v_add_f64 v[126:127], v[215:216], v[126:127]
	v_fma_f64 v[100:101], v[169:170], s[24:25], -v[100:101]
	v_add_f64 v[128:129], v[130:131], v[128:129]
	v_mul_f64 v[130:131], v[114:115], s[24:25]
	v_mul_f64 v[114:115], v[114:115], s[18:19]
	v_add_f64 v[102:103], v[102:103], -v[0:1]
	buffer_load_dword v0, off, s[60:63], 0 offset:32 ; 4-byte Folded Reload
	buffer_load_dword v1, off, s[60:63], 0 offset:36 ; 4-byte Folded Reload
	v_add_f64 v[98:99], v[100:101], v[98:99]
	v_mul_f64 v[100:101], v[134:135], s[20:21]
	v_add_f64 v[130:131], v[243:244], v[130:131]
	v_add_f64 v[114:115], v[211:212], v[114:115]
	;; [unrolled: 1-line block ×3, first 2 shown]
	v_mul_f64 v[134:135], v[134:135], s[36:37]
	v_add_f64 v[100:101], v[100:101], -v[237:238]
	v_add_f64 v[120:121], v[130:131], v[120:121]
	v_mul_f64 v[130:131], v[152:153], s[6:7]
	v_mul_f64 v[152:153], v[152:153], s[28:29]
	v_add_f64 v[28:29], v[134:135], -v[199:200]
	v_add_f64 v[120:121], v[132:133], v[120:121]
	v_add_f64 v[130:131], v[251:252], v[130:131]
	v_mul_f64 v[132:133], v[104:105], s[4:5]
	v_mul_f64 v[104:105], v[104:105], s[6:7]
	v_add_f64 v[152:153], v[221:222], v[152:153]
	v_add_f64 v[118:119], v[118:119], v[120:121]
	v_mul_f64 v[120:121], v[112:113], s[6:7]
	v_mul_f64 v[112:113], v[112:113], s[24:25]
	;; [unrolled: 4-line block ×3, first 2 shown]
	v_add_f64 v[104:105], v[14:15], v[104:105]
	v_add_f64 v[112:113], v[112:113], -v[225:226]
	v_add_f64 v[118:119], v[56:57], v[118:119]
	v_add_f64 v[56:57], v[108:109], v[78:79]
	;; [unrolled: 1-line block ×4, first 2 shown]
	v_mul_f64 v[114:115], v[167:168], s[24:25]
	v_add_f64 v[124:125], v[124:125], -v[229:230]
	v_add_f64 v[102:103], v[112:113], v[102:103]
	v_mul_f64 v[112:113], v[148:149], s[28:29]
	v_add_f64 v[96:97], v[96:97], v[118:119]
	v_add_f64 v[118:119], v[213:214], v[171:172]
	v_mul_f64 v[167:168], v[169:170], s[8:9]
	v_add_f64 v[104:105], v[126:127], v[104:105]
	v_mul_f64 v[126:127], v[177:178], s[28:29]
	v_mul_f64 v[177:178], v[179:180], s[36:37]
	v_add_f64 v[102:103], v[124:125], v[102:103]
	v_mul_f64 v[124:125], v[165:166], s[20:21]
	v_mul_f64 v[165:166], v[169:170], s[28:29]
	v_add_f64 v[116:117], v[163:164], -v[231:232]
	v_mul_f64 v[148:149], v[148:149], s[6:7]
	v_add_f64 v[104:105], v[138:139], v[104:105]
	v_mul_f64 v[169:170], v[169:170], s[18:19]
	v_mul_f64 v[138:139], v[175:176], s[4:5]
	v_add_f64 v[100:101], v[100:101], v[102:103]
	v_mul_f64 v[102:103], v[175:176], s[36:37]
	v_mul_f64 v[179:180], v[179:180], s[28:29]
	;; [unrolled: 1-line block ×3, first 2 shown]
	v_add_f64 v[148:149], v[148:149], -v[233:234]
	v_add_f64 v[104:105], v[152:153], v[104:105]
	v_add_f64 v[76:77], v[169:170], -v[235:236]
	v_add_f64 v[32:33], v[138:139], -v[197:198]
	v_add_f64 v[108:109], v[245:246], v[179:180]
	v_add_f64 v[58:59], v[175:176], -v[239:240]
	v_add_f64 v[100:101], v[148:149], v[100:101]
	s_waitcnt vmcnt(0)
	v_add_f64 v[122:123], v[0:1], v[132:133]
	buffer_load_dword v0, off, s[60:63], 0 offset:24 ; 4-byte Folded Reload
	buffer_load_dword v1, off, s[60:63], 0 offset:28 ; 4-byte Folded Reload
	v_add_f64 v[104:105], v[161:162], v[104:105]
	v_mov_b32_e32 v164, v6
	v_mov_b32_e32 v163, v5
	;; [unrolled: 1-line block ×4, first 2 shown]
	v_add_f64 v[100:101], v[116:117], v[100:101]
	v_add_f64 v[14:15], v[14:15], v[122:123]
	;; [unrolled: 1-line block ×5, first 2 shown]
	s_waitcnt vmcnt(0)
	v_add_f64 v[20:21], v[106:107], -v[0:1]
	buffer_load_dword v0, off, s[60:63], 0 offset:224 ; 4-byte Folded Reload
	buffer_load_dword v1, off, s[60:63], 0 offset:228 ; 4-byte Folded Reload
	v_add_f64 v[20:21], v[12:13], v[20:21]
	s_waitcnt vmcnt(0)
	v_add_f64 v[22:23], v[110:111], -v[0:1]
	buffer_load_dword v0, off, s[60:63], 0 offset:216 ; 4-byte Folded Reload
	buffer_load_dword v1, off, s[60:63], 0 offset:220 ; 4-byte Folded Reload
	v_add_f64 v[12:13], v[12:13], v[22:23]
	v_add_f64 v[22:23], v[144:145], -v[191:192]
	s_waitcnt vmcnt(0)
	v_add_f64 v[106:107], v[136:137], -v[0:1]
	buffer_load_dword v0, off, s[60:63], 0 offset:208 ; 4-byte Folded Reload
	buffer_load_dword v1, off, s[60:63], 0 offset:212 ; 4-byte Folded Reload
	v_add_f64 v[12:13], v[106:107], v[12:13]
	v_add_f64 v[12:13], v[22:23], v[12:13]
	v_add_f64 v[22:23], v[112:113], -v[201:202]
	v_add_f64 v[12:13], v[28:29], v[12:13]
	v_add_f64 v[12:13], v[22:23], v[12:13]
	v_add_f64 v[22:23], v[167:168], -v[195:196]
	s_waitcnt vmcnt(0)
	v_add_f64 v[110:111], v[0:1], v[140:141]
	buffer_load_dword v0, off, s[60:63], 0 offset:16 ; 4-byte Folded Reload
	buffer_load_dword v1, off, s[60:63], 0 offset:20 ; 4-byte Folded Reload
	v_add_f64 v[14:15], v[110:111], v[14:15]
	s_waitcnt vmcnt(0)
	v_add_f64 v[118:119], v[120:121], -v[0:1]
	buffer_load_dword v0, off, s[60:63], 0 offset:192 ; 4-byte Folded Reload
	buffer_load_dword v1, off, s[60:63], 0 offset:196 ; 4-byte Folded Reload
	v_add_f64 v[20:21], v[118:119], v[20:21]
	s_waitcnt vmcnt(0)
	v_add_f64 v[24:25], v[0:1], v[142:143]
	buffer_load_dword v0, off, s[60:63], 0 offset:96 ; 4-byte Folded Reload
	buffer_load_dword v1, off, s[60:63], 0 offset:100 ; 4-byte Folded Reload
	v_add_f64 v[14:15], v[24:25], v[14:15]
	s_waitcnt vmcnt(0)
	v_add_f64 v[26:27], v[130:131], -v[0:1]
	buffer_load_dword v0, off, s[60:63], 0 offset:176 ; 4-byte Folded Reload
	buffer_load_dword v1, off, s[60:63], 0 offset:180 ; 4-byte Folded Reload
	v_add_f64 v[20:21], v[26:27], v[20:21]
	s_waitcnt vmcnt(0)
	v_add_f64 v[30:31], v[0:1], v[150:151]
	buffer_load_dword v0, off, s[60:63], 0 offset:112 ; 4-byte Folded Reload
	buffer_load_dword v1, off, s[60:63], 0 offset:116 ; 4-byte Folded Reload
	v_mov_b32_e32 v150, v2
	v_add_f64 v[14:15], v[30:31], v[14:15]
	s_waitcnt vmcnt(0)
	v_add_f64 v[24:25], v[146:147], -v[0:1]
	buffer_load_dword v0, off, s[60:63], 0 offset:144 ; 4-byte Folded Reload
	buffer_load_dword v1, off, s[60:63], 0 offset:148 ; 4-byte Folded Reload
	v_add_f64 v[20:21], v[24:25], v[20:21]
	v_add_f64 v[24:25], v[124:125], -v[193:194]
	v_add_f64 v[12:13], v[24:25], v[12:13]
	v_add_f64 v[12:13], v[22:23], v[12:13]
	s_waitcnt vmcnt(0)
	v_add_f64 v[26:27], v[0:1], v[157:158]
	buffer_load_dword v0, off, s[60:63], 0 offset:56 ; 4-byte Folded Reload
	buffer_load_dword v1, off, s[60:63], 0 offset:60 ; 4-byte Folded Reload
	v_add_f64 v[14:15], v[26:27], v[14:15]
	s_waitcnt vmcnt(0)
	v_add_f64 v[30:31], v[154:155], -v[0:1]
	buffer_load_dword v0, off, s[60:63], 0 offset:160 ; 4-byte Folded Reload
	buffer_load_dword v1, off, s[60:63], 0 offset:164 ; 4-byte Folded Reload
	v_add_f64 v[20:21], v[30:31], v[20:21]
	s_waitcnt vmcnt(0)
	v_add_f64 v[28:29], v[0:1], v[114:115]
	buffer_load_dword v0, off, s[60:63], 0 offset:72 ; 4-byte Folded Reload
	buffer_load_dword v1, off, s[60:63], 0 offset:76 ; 4-byte Folded Reload
	v_add_f64 v[14:15], v[28:29], v[14:15]
	s_waitcnt vmcnt(0)
	v_add_f64 v[26:27], v[159:160], -v[0:1]
	buffer_load_dword v0, off, s[60:63], 0 offset:128 ; 4-byte Folded Reload
	buffer_load_dword v1, off, s[60:63], 0 offset:132 ; 4-byte Folded Reload
	v_add_f64 v[20:21], v[26:27], v[20:21]
	s_waitcnt vmcnt(0)
	v_add_f64 v[30:31], v[0:1], v[126:127]
	buffer_load_dword v0, off, s[60:63], 0 offset:48 ; 4-byte Folded Reload
	buffer_load_dword v1, off, s[60:63], 0 offset:52 ; 4-byte Folded Reload
	v_add_f64 v[26:27], v[30:31], v[14:15]
	v_add_f64 v[14:15], v[108:109], v[96:97]
	s_waitcnt vmcnt(0)
	v_add_f64 v[28:29], v[165:166], -v[0:1]
	buffer_load_dword v0, off, s[60:63], 0 offset:88 ; 4-byte Folded Reload
	buffer_load_dword v1, off, s[60:63], 0 offset:92 ; 4-byte Folded Reload
	v_add_f64 v[20:21], v[28:29], v[20:21]
	v_add_f64 v[28:29], v[76:77], v[100:101]
	;; [unrolled: 1-line block ×3, first 2 shown]
	s_waitcnt vmcnt(0)
	v_add_f64 v[24:25], v[0:1], v[177:178]
	buffer_load_dword v0, off, s[60:63], 0 offset:40 ; 4-byte Folded Reload
	buffer_load_dword v1, off, s[60:63], 0 offset:44 ; 4-byte Folded Reload
	v_add_f64 v[22:23], v[24:25], v[26:27]
	v_add_f64 v[26:27], v[34:35], v[54:55]
	;; [unrolled: 1-line block ×3, first 2 shown]
	v_mov_b32_e32 v186, v10
	v_mov_b32_e32 v185, v9
	;; [unrolled: 1-line block ×4, first 2 shown]
	buffer_load_dword v4, off, s[60:63], 0  ; 4-byte Folded Reload
	buffer_load_dword v5, off, s[60:63], 0 offset:4 ; 4-byte Folded Reload
	buffer_load_dword v6, off, s[60:63], 0 offset:8 ; 4-byte Folded Reload
	;; [unrolled: 1-line block ×3, first 2 shown]
	v_add_f64 v[24:25], v[16:17], v[52:53]
	v_add_f64 v[16:17], v[32:33], v[12:13]
	;; [unrolled: 1-line block ×3, first 2 shown]
	s_waitcnt vmcnt(4)
	v_add_f64 v[30:31], v[102:103], -v[0:1]
	v_mul_lo_u16_e32 v0, 17, v255
	v_add_lshl_u32 v0, v228, v0, 4
	v_add_f64 v[20:21], v[30:31], v[20:21]
	ds_write_b128 v0, v[24:27]
	ds_write_b128 v0, v[20:23] offset:16
	ds_write_b128 v0, v[16:19] offset:32
	;; [unrolled: 1-line block ×13, first 2 shown]
	s_waitcnt vmcnt(0)
	ds_write_b128 v0, v[4:7] offset:224
	ds_write_b128 v0, v[183:186] offset:240
	ds_write_b128 v0, v[161:164] offset:256
.LBB0_7:
	s_or_b64 exec, exec, s[44:45]
	v_mul_u32_u24_e32 v0, 6, v255
	v_lshlrev_b32_e32 v0, 4, v0
	s_load_dwordx4 s[4:7], s[2:3], 0x0
	s_waitcnt lgkmcnt(0)
	; wave barrier
	s_waitcnt lgkmcnt(0)
	global_load_dwordx4 v[28:31], v0, s[0:1]
	global_load_dwordx4 v[24:27], v0, s[0:1] offset:16
	global_load_dwordx4 v[20:23], v0, s[0:1] offset:32
	;; [unrolled: 1-line block ×5, first 2 shown]
	v_add_lshl_u32 v221, v228, v255, 4
	ds_read_b128 v[36:39], v221
	ds_read_b128 v[40:43], v221 offset:272
	ds_read_b128 v[44:47], v221 offset:544
	;; [unrolled: 1-line block ×13, first 2 shown]
	s_mov_b32 s8, 0x37e14327
	s_mov_b32 s2, 0x36b3c0b5
	;; [unrolled: 1-line block ×8, first 2 shown]
	v_mov_b32_e32 v1, s1
	v_add_co_u32_e64 v0, s[0:1], s0, v0
	v_addc_co_u32_e64 v1, s[0:1], 0, v1, s[0:1]
	s_mov_b32 s18, 0xaaaaaaaa
	s_mov_b32 s0, 0x5476071b
	;; [unrolled: 1-line block ×12, first 2 shown]
	v_mul_i32_i24_e32 v3, 0xffffffb0, v255
	s_waitcnt lgkmcnt(0)
	; wave barrier
	s_waitcnt lgkmcnt(0)
	v_mul_hi_i32_i24_e32 v2, 0xffffffb0, v255
	v_lshl_add_u32 v222, v255, 4, v150
	s_waitcnt vmcnt(5)
	v_mul_f64 v[92:93], v[46:47], v[30:31]
	v_mul_f64 v[94:95], v[44:45], v[30:31]
	s_waitcnt vmcnt(4)
	v_mul_f64 v[96:97], v[54:55], v[26:27]
	v_mul_f64 v[98:99], v[52:53], v[26:27]
	;; [unrolled: 3-line block ×4, first 2 shown]
	v_mul_f64 v[100:101], v[62:63], v[22:23]
	v_mul_f64 v[102:103], v[60:61], v[22:23]
	;; [unrolled: 1-line block ×8, first 2 shown]
	v_fma_f64 v[44:45], v[44:45], v[28:29], -v[92:93]
	v_fma_f64 v[46:47], v[46:47], v[28:29], v[94:95]
	v_fma_f64 v[52:53], v[52:53], v[24:25], -v[96:97]
	v_fma_f64 v[54:55], v[54:55], v[24:25], v[98:99]
	;; [unrolled: 2-line block ×8, first 2 shown]
	v_add_f64 v[48:49], v[44:45], v[84:85]
	v_add_f64 v[50:51], v[46:47], v[86:87]
	;; [unrolled: 1-line block ×4, first 2 shown]
	v_add_f64 v[44:45], v[44:45], -v[84:85]
	v_add_f64 v[46:47], v[46:47], -v[86:87]
	;; [unrolled: 1-line block ×4, first 2 shown]
	v_add_f64 v[76:77], v[60:61], v[68:69]
	v_add_f64 v[78:79], v[62:63], v[70:71]
	v_add_f64 v[60:61], v[68:69], -v[60:61]
	v_add_f64 v[62:63], v[70:71], -v[62:63]
	v_add_f64 v[68:69], v[56:57], v[48:49]
	v_add_f64 v[70:71], v[58:59], v[50:51]
	v_add_f64 v[84:85], v[56:57], -v[48:49]
	v_add_f64 v[86:87], v[58:59], -v[50:51]
	;; [unrolled: 1-line block ×6, first 2 shown]
	v_add_f64 v[100:101], v[60:61], v[52:53]
	v_add_f64 v[102:103], v[62:63], v[54:55]
	v_add_f64 v[104:105], v[60:61], -v[52:53]
	v_add_f64 v[106:107], v[62:63], -v[54:55]
	v_add_f64 v[68:69], v[76:77], v[68:69]
	v_add_f64 v[70:71], v[78:79], v[70:71]
	v_add_f64 v[52:53], v[52:53], -v[44:45]
	v_add_f64 v[54:55], v[54:55], -v[46:47]
	;; [unrolled: 1-line block ×4, first 2 shown]
	v_add_f64 v[44:45], v[100:101], v[44:45]
	v_add_f64 v[46:47], v[102:103], v[46:47]
	v_mul_f64 v[48:49], v[48:49], s[8:9]
	v_mul_f64 v[50:51], v[50:51], s[8:9]
	v_add_f64 v[36:37], v[36:37], v[68:69]
	v_add_f64 v[38:39], v[38:39], v[70:71]
	v_mul_f64 v[76:77], v[56:57], s[2:3]
	v_mul_f64 v[78:79], v[58:59], s[2:3]
	;; [unrolled: 1-line block ×10, first 2 shown]
	v_fma_f64 v[68:69], v[68:69], s[18:19], v[36:37]
	v_fma_f64 v[70:71], v[70:71], s[18:19], v[38:39]
	;; [unrolled: 1-line block ×4, first 2 shown]
	v_fma_f64 v[76:77], v[84:85], s[0:1], -v[76:77]
	v_fma_f64 v[78:79], v[86:87], s[0:1], -v[78:79]
	;; [unrolled: 1-line block ×4, first 2 shown]
	v_fma_f64 v[84:85], v[60:61], s[22:23], v[100:101]
	v_fma_f64 v[86:87], v[62:63], s[22:23], v[102:103]
	v_fma_f64 v[52:53], v[52:53], s[10:11], -v[100:101]
	v_fma_f64 v[54:55], v[54:55], s[10:11], -v[102:103]
	;; [unrolled: 1-line block ×4, first 2 shown]
	v_mul_f64 v[124:125], v[66:67], v[22:23]
	v_mul_f64 v[126:127], v[64:65], v[22:23]
	;; [unrolled: 1-line block ×4, first 2 shown]
	v_fma_f64 v[80:81], v[80:81], v[32:33], -v[132:133]
	v_fma_f64 v[82:83], v[82:83], v[32:33], v[134:135]
	v_add_f64 v[100:101], v[56:57], v[68:69]
	v_add_f64 v[102:103], v[58:59], v[70:71]
	;; [unrolled: 1-line block ×6, first 2 shown]
	v_fma_f64 v[76:77], v[46:47], s[24:25], v[86:87]
	v_fma_f64 v[78:79], v[44:45], s[24:25], v[84:85]
	;; [unrolled: 1-line block ×6, first 2 shown]
	v_fma_f64 v[88:89], v[88:89], v[12:13], -v[136:137]
	v_fma_f64 v[90:91], v[90:91], v[12:13], v[138:139]
	v_fma_f64 v[64:65], v[64:65], v[20:21], -v[124:125]
	v_fma_f64 v[66:67], v[66:67], v[20:21], v[126:127]
	;; [unrolled: 2-line block ×3, first 2 shown]
	v_add_f64 v[48:49], v[62:63], v[68:69]
	v_add_f64 v[50:51], v[70:71], -v[84:85]
	v_add_f64 v[52:53], v[56:57], -v[60:61]
	v_add_f64 v[54:55], v[86:87], v[58:59]
	v_add_f64 v[56:57], v[60:61], v[56:57]
	v_add_f64 v[58:59], v[58:59], -v[86:87]
	v_add_f64 v[60:61], v[68:69], -v[62:63]
	v_add_f64 v[62:63], v[84:85], v[70:71]
	v_add_f64 v[68:69], v[92:93], v[88:89]
	;; [unrolled: 1-line block ×3, first 2 shown]
	v_add_f64 v[84:85], v[92:93], -v[88:89]
	v_add_f64 v[86:87], v[94:95], -v[90:91]
	v_add_f64 v[88:89], v[96:97], v[80:81]
	v_add_f64 v[90:91], v[98:99], v[82:83]
	v_add_f64 v[80:81], v[96:97], -v[80:81]
	v_add_f64 v[82:83], v[98:99], -v[82:83]
	v_add_f64 v[92:93], v[64:65], v[72:73]
	v_add_f64 v[94:95], v[66:67], v[74:75]
	;; [unrolled: 4-line block ×3, first 2 shown]
	v_add_f64 v[96:97], v[88:89], -v[68:69]
	v_add_f64 v[98:99], v[90:91], -v[70:71]
	;; [unrolled: 1-line block ×6, first 2 shown]
	v_add_f64 v[104:105], v[64:65], v[80:81]
	v_add_f64 v[106:107], v[66:67], v[82:83]
	v_add_f64 v[108:109], v[64:65], -v[80:81]
	v_add_f64 v[110:111], v[66:67], -v[82:83]
	v_add_f64 v[72:73], v[92:93], v[72:73]
	v_add_f64 v[74:75], v[94:95], v[74:75]
	v_add_f64 v[80:81], v[80:81], -v[84:85]
	v_add_f64 v[82:83], v[82:83], -v[86:87]
	;; [unrolled: 1-line block ×4, first 2 shown]
	v_add_f64 v[84:85], v[104:105], v[84:85]
	v_add_f64 v[86:87], v[106:107], v[86:87]
	v_add_f64 v[40:41], v[40:41], v[72:73]
	v_add_f64 v[42:43], v[42:43], v[74:75]
	v_mul_f64 v[68:69], v[68:69], s[8:9]
	v_mul_f64 v[70:71], v[70:71], s[8:9]
	;; [unrolled: 1-line block ×8, first 2 shown]
	v_fma_f64 v[72:73], v[72:73], s[18:19], v[40:41]
	v_fma_f64 v[74:75], v[74:75], s[18:19], v[42:43]
	v_fma_f64 v[88:89], v[88:89], s[2:3], v[68:69]
	v_fma_f64 v[90:91], v[90:91], s[2:3], v[70:71]
	v_fma_f64 v[92:93], v[96:97], s[0:1], -v[92:93]
	v_fma_f64 v[94:95], v[98:99], s[0:1], -v[94:95]
	;; [unrolled: 1-line block ×4, first 2 shown]
	v_fma_f64 v[96:97], v[64:65], s[22:23], v[104:105]
	v_fma_f64 v[98:99], v[66:67], s[22:23], v[106:107]
	v_fma_f64 v[80:81], v[80:81], s[10:11], -v[104:105]
	v_fma_f64 v[82:83], v[82:83], s[10:11], -v[106:107]
	;; [unrolled: 1-line block ×4, first 2 shown]
	v_add_f64 v[88:89], v[88:89], v[72:73]
	v_add_f64 v[90:91], v[90:91], v[74:75]
	;; [unrolled: 1-line block ×6, first 2 shown]
	v_fma_f64 v[98:99], v[86:87], s[24:25], v[98:99]
	v_fma_f64 v[96:97], v[84:85], s[24:25], v[96:97]
	;; [unrolled: 1-line block ×6, first 2 shown]
	v_add_f64 v[44:45], v[76:77], v[100:101]
	v_add_f64 v[46:47], v[102:103], -v[78:79]
	v_add_f64 v[64:65], v[100:101], -v[76:77]
	v_add_f64 v[66:67], v[78:79], v[102:103]
	v_add_f64 v[68:69], v[98:99], v[88:89]
	v_add_f64 v[70:71], v[90:91], -v[96:97]
	v_add_f64 v[72:73], v[108:109], v[104:105]
	v_add_f64 v[74:75], v[106:107], -v[110:111]
	v_add_f64 v[76:77], v[92:93], -v[82:83]
	v_add_f64 v[78:79], v[84:85], v[94:95]
	v_add_f64 v[80:81], v[82:83], v[92:93]
	v_add_f64 v[82:83], v[94:95], -v[84:85]
	v_add_f64 v[84:85], v[104:105], -v[108:109]
	v_add_f64 v[86:87], v[110:111], v[106:107]
	v_add_f64 v[88:89], v[88:89], -v[98:99]
	v_add_f64 v[90:91], v[96:97], v[90:91]
	ds_write_b128 v221, v[36:39]
	ds_write_b128 v221, v[44:47] offset:272
	ds_write_b128 v221, v[48:51] offset:544
	;; [unrolled: 1-line block ×13, first 2 shown]
	v_add_co_u32_e64 v64, s[0:1], v0, v3
	v_addc_co_u32_e64 v65, s[0:1], v1, v2, s[0:1]
	s_waitcnt lgkmcnt(0)
	; wave barrier
	s_waitcnt lgkmcnt(0)
	global_load_dwordx4 v[213:216], v[64:65], off offset:1632
	global_load_dwordx4 v[44:47], v[64:65], off offset:1904
	;; [unrolled: 1-line block ×7, first 2 shown]
	ds_read_b128 v[64:67], v221 offset:1904
	ds_read_b128 v[76:79], v221
	ds_read_b128 v[84:87], v221 offset:272
	ds_read_b128 v[68:71], v221 offset:2176
	;; [unrolled: 1-line block ×12, first 2 shown]
	s_waitcnt vmcnt(6) lgkmcnt(13)
	v_mul_f64 v[120:121], v[66:67], v[215:216]
	v_mul_f64 v[122:123], v[64:65], v[215:216]
	s_waitcnt vmcnt(5) lgkmcnt(10)
	v_mul_f64 v[124:125], v[70:71], v[46:47]
	v_mul_f64 v[126:127], v[68:69], v[46:47]
	;; [unrolled: 3-line block ×4, first 2 shown]
	v_fma_f64 v[64:65], v[64:65], v[213:214], -v[120:121]
	v_fma_f64 v[66:67], v[66:67], v[213:214], v[122:123]
	v_fma_f64 v[120:121], v[68:69], v[44:45], -v[124:125]
	v_fma_f64 v[122:123], v[70:71], v[44:45], v[126:127]
	v_mul_f64 v[68:69], v[74:75], v[42:43]
	v_mul_f64 v[70:71], v[72:73], v[42:43]
	;; [unrolled: 1-line block ×4, first 2 shown]
	v_fma_f64 v[92:93], v[92:93], v[56:57], -v[128:129]
	v_fma_f64 v[94:95], v[94:95], v[56:57], v[130:131]
	s_waitcnt vmcnt(0) lgkmcnt(0)
	v_mul_f64 v[128:129], v[114:115], v[54:55]
	v_mul_f64 v[130:131], v[112:113], v[54:55]
	v_fma_f64 v[136:137], v[72:73], v[40:41], -v[68:69]
	v_fma_f64 v[138:139], v[74:75], v[40:41], v[70:71]
	v_fma_f64 v[124:125], v[80:81], v[48:49], -v[124:125]
	v_fma_f64 v[126:127], v[82:83], v[48:49], v[126:127]
	;; [unrolled: 2-line block ×3, first 2 shown]
	v_add_f64 v[68:69], v[76:77], -v[64:65]
	v_add_f64 v[70:71], v[78:79], -v[66:67]
	;; [unrolled: 1-line block ×6, first 2 shown]
	v_fma_f64 v[112:113], v[112:113], v[52:53], -v[128:129]
	v_fma_f64 v[114:115], v[114:115], v[52:53], v[130:131]
	v_fma_f64 v[64:65], v[76:77], 2.0, -v[68:69]
	v_fma_f64 v[66:67], v[78:79], 2.0, -v[70:71]
	;; [unrolled: 1-line block ×6, first 2 shown]
	v_add_f64 v[88:89], v[100:101], -v[124:125]
	v_add_f64 v[90:91], v[102:103], -v[126:127]
	;; [unrolled: 1-line block ×8, first 2 shown]
	v_fma_f64 v[100:101], v[100:101], 2.0, -v[88:89]
	v_fma_f64 v[102:103], v[102:103], 2.0, -v[90:91]
	v_fma_f64 v[104:105], v[104:105], 2.0, -v[92:93]
	v_fma_f64 v[106:107], v[106:107], 2.0, -v[94:95]
	v_fma_f64 v[108:109], v[108:109], 2.0, -v[96:97]
	v_fma_f64 v[110:111], v[110:111], 2.0, -v[98:99]
	v_fma_f64 v[116:117], v[116:117], 2.0, -v[112:113]
	v_fma_f64 v[118:119], v[118:119], 2.0, -v[114:115]
	v_add_u32_e32 v120, v227, v150
	ds_write_b128 v222, v[64:67]
	ds_write_b128 v222, v[68:71] offset:1904
	ds_write_b128 v222, v[76:79] offset:272
	;; [unrolled: 1-line block ×13, first 2 shown]
	s_waitcnt lgkmcnt(0)
	; wave barrier
	s_waitcnt lgkmcnt(0)
	s_and_saveexec_b64 s[0:1], vcc
	s_cbranch_execz .LBB0_9
; %bb.8:
	global_load_dwordx4 v[125:128], v227, s[12:13] offset:3808
	ds_read_b128 v[121:124], v222
	s_add_u32 s2, s12, 0xee0
	s_addc_u32 s3, s13, 0
	s_waitcnt vmcnt(0) lgkmcnt(0)
	v_mul_f64 v[129:130], v[123:124], v[127:128]
	v_fma_f64 v[129:130], v[121:122], v[125:126], -v[129:130]
	v_mul_f64 v[121:122], v[121:122], v[127:128]
	v_fma_f64 v[131:132], v[123:124], v[125:126], v[121:122]
	global_load_dwordx4 v[125:128], v227, s[2:3] offset:224
	ds_read_b128 v[121:124], v222 offset:224
	ds_write_b128 v222, v[129:132]
	s_waitcnt vmcnt(0) lgkmcnt(1)
	v_mul_f64 v[129:130], v[123:124], v[127:128]
	v_fma_f64 v[129:130], v[121:122], v[125:126], -v[129:130]
	v_mul_f64 v[121:122], v[121:122], v[127:128]
	v_fma_f64 v[131:132], v[123:124], v[125:126], v[121:122]
	global_load_dwordx4 v[125:128], v227, s[2:3] offset:448
	ds_read_b128 v[121:124], v222 offset:448
	ds_write_b128 v222, v[129:132] offset:224
	s_waitcnt vmcnt(0) lgkmcnt(1)
	v_mul_f64 v[129:130], v[123:124], v[127:128]
	v_fma_f64 v[129:130], v[121:122], v[125:126], -v[129:130]
	v_mul_f64 v[121:122], v[121:122], v[127:128]
	v_fma_f64 v[131:132], v[123:124], v[125:126], v[121:122]
	global_load_dwordx4 v[125:128], v227, s[2:3] offset:672
	ds_read_b128 v[121:124], v222 offset:672
	ds_write_b128 v222, v[129:132] offset:448
	;; [unrolled: 8-line block ×15, first 2 shown]
	s_waitcnt vmcnt(0) lgkmcnt(1)
	v_mul_f64 v[129:130], v[123:124], v[127:128]
	v_fma_f64 v[129:130], v[121:122], v[125:126], -v[129:130]
	v_mul_f64 v[121:122], v[121:122], v[127:128]
	v_fma_f64 v[131:132], v[123:124], v[125:126], v[121:122]
	ds_write_b128 v222, v[129:132] offset:3584
.LBB0_9:
	s_or_b64 exec, exec, s[0:1]
	s_waitcnt lgkmcnt(0)
	; wave barrier
	s_waitcnt lgkmcnt(0)
	s_and_saveexec_b64 s[0:1], vcc
	s_cbranch_execz .LBB0_11
; %bb.10:
	ds_read_b128 v[64:67], v222
	ds_read_b128 v[68:71], v222 offset:224
	ds_read_b128 v[76:79], v222 offset:448
	;; [unrolled: 1-line block ×16, first 2 shown]
.LBB0_11:
	s_or_b64 exec, exec, s[0:1]
	v_add_u32_e32 v124, 0x220, v120
	v_add_u32_e32 v123, 0x330, v120
	;; [unrolled: 1-line block ×5, first 2 shown]
	s_waitcnt lgkmcnt(0)
	; wave barrier
	s_waitcnt lgkmcnt(0)
	s_and_saveexec_b64 s[0:1], vcc
	s_cbranch_execz .LBB0_13
; %bb.12:
	v_add_f64 v[219:220], v[68:69], -v[161:162]
	s_mov_b32 s16, 0xacd6c6b4
	s_mov_b32 s17, 0xbfc7851a
	buffer_store_dword v120, off, s[60:63], 0 offset:16 ; 4-byte Folded Spill
	buffer_store_dword v121, off, s[60:63], 0 offset:24 ; 4-byte Folded Spill
	v_add_f64 v[217:218], v[76:77], -v[183:184]
	buffer_store_dword v122, off, s[60:63], 0 offset:32 ; 4-byte Folded Spill
	buffer_store_dword v123, off, s[60:63], 0 offset:40 ; 4-byte Folded Spill
	v_add_f64 v[175:176], v[70:71], v[163:164]
	s_mov_b32 s38, 0x5d8e7cdc
	v_mul_f64 v[122:123], v[219:220], s[16:17]
	s_mov_b32 s2, 0x7faef3
	s_mov_b32 s39, 0x3fd71e95
	;; [unrolled: 1-line block ×3, first 2 shown]
	v_add_f64 v[10:11], v[72:73], -v[4:5]
	buffer_store_dword v124, off, s[60:63], 0 offset:48 ; 4-byte Folded Spill
	v_mul_f64 v[124:125], v[217:218], s[38:39]
	v_add_f64 v[171:172], v[78:79], v[185:186]
	v_fma_f64 v[126:127], v[175:176], s[2:3], v[122:123]
	v_add_f64 v[0:1], v[104:105], -v[92:93]
	s_mov_b32 s22, 0x4363dd80
	s_mov_b32 s18, 0x370991
	;; [unrolled: 1-line block ×4, first 2 shown]
	v_mul_f64 v[128:129], v[10:11], s[22:23]
	v_add_f64 v[173:174], v[74:75], v[6:7]
	v_fma_f64 v[130:131], v[171:172], s[18:19], v[124:125]
	v_add_f64 v[126:127], v[66:67], v[126:127]
	s_mov_b32 s50, 0xeb564b22
	s_mov_b32 s51, 0x3fefdd0d
	v_add_f64 v[8:9], v[80:81], -v[116:117]
	v_mov_b32_e32 v39, v1
	s_mov_b32 s8, 0x910ea3b9
	v_add_f64 v[2:3], v[100:101], -v[96:97]
	v_mul_f64 v[120:121], v[0:1], s[50:51]
	v_mov_b32_e32 v38, v0
	v_add_f64 v[0:1], v[84:85], -v[112:113]
	s_mov_b32 s9, 0xbfeb34fa
	v_fma_f64 v[134:135], v[173:174], s[8:9], v[128:129]
	v_add_f64 v[126:127], v[130:131], v[126:127]
	v_mov_b32_e32 v178, v11
	s_mov_b32 s24, 0x6c9a05f6
	v_mov_b32_e32 v177, v10
	s_mov_b32 s46, 0x2a9d6da3
	s_mov_b32 s25, 0xbfe9895b
	v_mov_b32_e32 v11, v9
	s_mov_b32 s42, 0x7c9e640b
	s_mov_b32 s47, 0x3fe58eea
	v_mov_b32_e32 v160, v1
	v_mul_f64 v[130:131], v[8:9], s[24:25]
	v_mov_b32_e32 v10, v8
	s_mov_b32 s43, 0x3feca52d
	v_mov_b32_e32 v9, v3
	v_mul_f64 v[132:133], v[0:1], s[46:47]
	v_mov_b32_e32 v159, v0
	v_add_f64 v[126:127], v[134:135], v[126:127]
	v_mul_f64 v[134:135], v[2:3], s[42:43]
	v_mov_b32_e32 v8, v2
	v_mov_b32_e32 v0, v161
	;; [unrolled: 1-line block ×5, first 2 shown]
	buffer_store_dword v0, off, s[60:63], 0 offset:56 ; 4-byte Folded Spill
	s_nop 0
	buffer_store_dword v1, off, s[60:63], 0 offset:60 ; 4-byte Folded Spill
	buffer_store_dword v2, off, s[60:63], 0 offset:64 ; 4-byte Folded Spill
	;; [unrolled: 1-line block ×3, first 2 shown]
	v_add_f64 v[169:170], v[86:87], v[114:115]
	s_mov_b32 s20, 0x75d4884
	s_mov_b32 s21, 0x3fe7a5f6
	v_add_f64 v[167:168], v[82:83], v[118:119]
	s_mov_b32 s10, 0x6ed5f1bb
	s_mov_b32 s11, 0xbfe348c8
	v_add_f64 v[165:166], v[102:103], v[98:99]
	s_mov_b32 s34, 0x2b2883cd
	v_fma_f64 v[136:137], v[169:170], s[20:21], v[132:133]
	s_mov_b32 s35, 0x3fdc86fa
	v_fma_f64 v[122:123], v[175:176], s[2:3], -v[122:123]
	v_fma_f64 v[138:139], v[167:168], s[10:11], v[130:131]
	v_add_f64 v[199:200], v[86:87], -v[114:115]
	v_add_f64 v[195:196], v[72:73], v[4:5]
	v_fma_f64 v[140:141], v[165:166], s[34:35], v[134:135]
	v_fma_f64 v[124:125], v[171:172], s[18:19], -v[124:125]
	v_add_f64 v[126:127], v[136:137], v[126:127]
	v_add_f64 v[161:162], v[82:83], -v[118:119]
	v_add_f64 v[122:123], v[66:67], v[122:123]
	v_add_f64 v[209:210], v[84:85], v[112:113]
	v_fma_f64 v[128:129], v[173:174], s[8:9], -v[128:129]
	v_add_f64 v[207:208], v[80:81], v[116:117]
	v_add_f64 v[36:37], v[88:89], -v[108:109]
	v_fma_f64 v[132:133], v[169:170], s[20:21], -v[132:133]
	v_add_f64 v[126:127], v[138:139], v[126:127]
	v_add_f64 v[205:206], v[100:101], v[96:97]
	;; [unrolled: 1-line block ×3, first 2 shown]
	s_mov_b32 s26, 0x923c349f
	s_mov_b32 s27, 0xbfeec746
	v_add_f64 v[163:164], v[90:91], v[110:111]
	v_mul_f64 v[136:137], v[36:37], s[26:27]
	v_add_f64 v[154:155], v[106:107], -v[94:95]
	v_add_f64 v[126:127], v[140:141], v[126:127]
	v_fma_f64 v[130:131], v[167:168], s[10:11], -v[130:131]
	v_add_f64 v[122:123], v[128:129], v[122:123]
	v_add_f64 v[203:204], v[88:89], v[108:109]
	s_mov_b32 s28, 0xc61f0d01
	s_mov_b32 s29, 0xbfd183b1
	v_add_f64 v[157:158], v[106:107], v[94:95]
	v_fma_f64 v[134:135], v[165:166], s[34:35], -v[134:135]
	v_add_f64 v[201:202], v[104:105], v[92:93]
	s_mov_b32 s30, 0x3259b75e
	v_add_f64 v[122:123], v[132:133], v[122:123]
	s_mov_b32 s31, 0x3fb79ee6
	v_mov_b32_e32 v192, v155
	s_mov_b32 s41, 0xbfefdd0d
	s_mov_b32 s40, s50
	v_mov_b32_e32 v191, v154
	s_mov_b32 s55, 0x3fe9895b
	s_mov_b32 s54, s24
	v_add_f64 v[122:123], v[130:131], v[122:123]
	s_mov_b32 s37, 0xbfd71e95
	s_mov_b32 s36, s38
	;; [unrolled: 1-line block ×4, first 2 shown]
	v_mul_f64 v[244:245], v[159:160], s[22:23]
	v_mul_f64 v[252:253], v[199:200], s[22:23]
	s_mov_b32 s45, 0xbfe58eea
	v_add_f64 v[122:123], v[134:135], v[122:123]
	s_mov_b32 s44, s46
	s_mov_b32 s57, 0x3fe0d888
	;; [unrolled: 1-line block ×5, first 2 shown]
	v_add_f64 v[142:143], v[70:71], -v[2:3]
	v_add_f64 v[2:3], v[78:79], -v[185:186]
	buffer_store_dword v183, off, s[60:63], 0 offset:72 ; 4-byte Folded Spill
	s_nop 0
	buffer_store_dword v184, off, s[60:63], 0 offset:76 ; 4-byte Folded Spill
	buffer_store_dword v185, off, s[60:63], 0 offset:80 ; 4-byte Folded Spill
	buffer_store_dword v186, off, s[60:63], 0 offset:84 ; 4-byte Folded Spill
	v_add_f64 v[187:188], v[68:69], v[0:1]
	v_add_f64 v[0:1], v[74:75], -v[6:7]
	buffer_store_dword v150, off, s[60:63], 0 offset:88 ; 4-byte Folded Spill
	v_mul_f64 v[150:151], v[199:200], s[46:47]
	v_add_f64 v[70:71], v[66:67], v[70:71]
	v_mul_f64 v[138:139], v[142:143], s[16:17]
	v_mul_f64 v[140:141], v[2:3], s[38:39]
	v_mov_b32_e32 v182, v3
	v_mov_b32_e32 v181, v2
	v_mul_f64 v[146:147], v[0:1], s[22:23]
	v_add_f64 v[2:3], v[90:91], -v[110:111]
	v_fma_f64 v[132:133], v[209:210], s[20:21], v[150:151]
	v_mov_b32_e32 v180, v143
	v_fma_f64 v[144:145], v[187:188], s[2:3], -v[138:139]
	v_fma_f64 v[138:139], v[187:188], s[2:3], v[138:139]
	v_mov_b32_e32 v179, v142
	v_fma_f64 v[142:143], v[163:164], s[28:29], v[136:137]
	v_fma_f64 v[152:153], v[195:196], s[8:9], -v[146:147]
	v_fma_f64 v[128:129], v[195:196], s[8:9], v[146:147]
	v_fma_f64 v[136:137], v[163:164], s[28:29], -v[136:137]
	v_mov_b32_e32 v190, v1
	v_add_f64 v[144:145], v[64:65], v[144:145]
	v_add_f64 v[138:139], v[64:65], v[138:139]
	v_mov_b32_e32 v194, v3
	v_add_f64 v[126:127], v[142:143], v[126:127]
	v_mov_b32_e32 v189, v0
	v_mov_b32_e32 v193, v2
	v_fma_f64 v[142:143], v[157:158], s[30:31], -v[120:121]
	v_add_f64 v[136:137], v[136:137], v[122:123]
	v_mul_f64 v[232:233], v[181:182], s[42:43]
	v_mul_f64 v[248:249], v[189:190], s[36:37]
	v_mov_b32_e32 v212, v194
	v_mov_b32_e32 v211, v193
	v_add_f64 v[68:69], v[64:65], v[68:69]
	v_add_f64 v[70:71], v[70:71], v[78:79]
	v_fma_f64 v[223:224], v[195:196], s[18:19], -v[248:249]
	v_add_f64 v[68:69], v[68:69], v[76:77]
	v_add_f64 v[70:71], v[70:71], v[74:75]
	;; [unrolled: 1-line block ×7, first 2 shown]
	v_add_f64 v[183:184], v[102:103], -v[98:99]
	v_fma_f64 v[148:149], v[185:186], s[18:19], -v[140:141]
	v_fma_f64 v[124:125], v[185:186], s[18:19], v[140:141]
	v_mul_f64 v[140:141], v[161:162], s[24:25]
	v_fma_f64 v[240:241], v[185:186], s[34:35], -v[232:233]
	v_fma_f64 v[232:233], v[185:186], s[34:35], v[232:233]
	v_mul_f64 v[86:87], v[183:184], s[24:25]
	v_add_f64 v[144:145], v[148:149], v[144:145]
	v_fma_f64 v[148:149], v[209:210], s[20:21], -v[150:151]
	v_add_f64 v[124:125], v[124:125], v[138:139]
	v_mul_f64 v[138:139], v[183:184], s[42:43]
	v_fma_f64 v[146:147], v[207:208], s[10:11], -v[140:141]
	v_fma_f64 v[130:131], v[207:208], s[10:11], v[140:141]
	v_mul_f64 v[150:151], v[159:160], s[54:55]
	v_add_f64 v[144:145], v[152:153], v[144:145]
	v_mul_f64 v[152:153], v[179:180], s[22:23]
	v_add_f64 v[124:125], v[128:129], v[124:125]
	v_mul_f64 v[128:129], v[2:3], s[26:27]
	v_fma_f64 v[134:135], v[205:206], s[34:35], v[138:139]
	v_fma_f64 v[236:237], v[169:170], s[10:11], v[150:151]
	v_fma_f64 v[150:151], v[169:170], s[10:11], -v[150:151]
	v_add_f64 v[144:145], v[148:149], v[144:145]
	v_fma_f64 v[148:149], v[205:206], s[34:35], -v[138:139]
	v_add_f64 v[124:125], v[132:133], v[124:125]
	v_mul_f64 v[132:133], v[154:155], s[50:51]
	v_fma_f64 v[140:141], v[203:204], s[28:29], -v[128:129]
	v_mul_f64 v[154:155], v[177:178], s[40:41]
	v_fma_f64 v[234:235], v[187:188], s[8:9], -v[152:153]
	v_fma_f64 v[152:153], v[187:188], s[8:9], v[152:153]
	v_add_f64 v[144:145], v[146:147], v[144:145]
	v_mul_f64 v[146:147], v[217:218], s[42:43]
	v_add_f64 v[124:125], v[130:131], v[124:125]
	v_fma_f64 v[130:131], v[157:158], s[30:31], v[120:121]
	v_fma_f64 v[138:139], v[201:202], s[30:31], -v[132:133]
	v_fma_f64 v[238:239], v[173:174], s[30:31], v[154:155]
	v_add_f64 v[234:235], v[64:65], v[234:235]
	v_add_f64 v[152:153], v[64:65], v[152:153]
	;; [unrolled: 1-line block ×3, first 2 shown]
	v_fma_f64 v[154:155], v[173:174], s[30:31], -v[154:155]
	v_fma_f64 v[128:129], v[203:204], s[28:29], v[128:129]
	v_add_f64 v[2:3], v[130:131], v[126:127]
	v_add_f64 v[124:125], v[134:135], v[124:125]
	v_mul_f64 v[130:131], v[36:37], s[46:47]
	v_add_f64 v[234:235], v[240:241], v[234:235]
	v_add_f64 v[152:153], v[232:233], v[152:153]
	;; [unrolled: 1-line block ×3, first 2 shown]
	v_mul_f64 v[144:145], v[8:9], s[16:17]
	v_fma_f64 v[132:133], v[201:202], s[30:31], v[132:133]
	v_mul_f64 v[134:135], v[38:39], s[26:27]
	v_add_f64 v[124:125], v[128:129], v[124:125]
	v_mov_b32_e32 v123, v7
	v_mov_b32_e32 v122, v6
	;; [unrolled: 1-line block ×3, first 2 shown]
	v_add_f64 v[0:1], v[138:139], v[140:141]
	buffer_store_dword v0, off, s[60:63], 0 offset:96 ; 4-byte Folded Spill
	s_nop 0
	buffer_store_dword v1, off, s[60:63], 0 offset:100 ; 4-byte Folded Spill
	buffer_store_dword v2, off, s[60:63], 0 offset:104 ; 4-byte Folded Spill
	;; [unrolled: 1-line block ×3, first 2 shown]
	v_add_f64 v[2:3], v[142:143], v[136:137]
	v_mul_f64 v[136:137], v[219:220], s[22:23]
	buffer_store_dword v228, off, s[60:63], 0 ; 4-byte Folded Spill
	v_fma_f64 v[228:229], v[171:172], s[34:35], v[146:147]
	v_fma_f64 v[146:147], v[171:172], s[34:35], -v[146:147]
	v_mul_f64 v[142:143], v[10:11], s[36:37]
	v_fma_f64 v[140:141], v[165:166], s[2:3], v[144:145]
	v_fma_f64 v[144:145], v[165:166], s[2:3], -v[144:145]
	v_add_f64 v[0:1], v[132:133], v[124:125]
	v_fma_f64 v[148:149], v[175:176], s[8:9], v[136:137]
	v_fma_f64 v[136:137], v[175:176], s[8:9], -v[136:137]
	v_fma_f64 v[138:139], v[163:164], s[20:21], v[130:131]
	v_fma_f64 v[128:129], v[157:158], s[28:29], v[134:135]
	;; [unrolled: 1-line block ×3, first 2 shown]
	v_fma_f64 v[142:143], v[167:168], s[18:19], -v[142:143]
	buffer_store_dword v0, off, s[60:63], 0 offset:112 ; 4-byte Folded Spill
	s_nop 0
	buffer_store_dword v1, off, s[60:63], 0 offset:116 ; 4-byte Folded Spill
	buffer_store_dword v2, off, s[60:63], 0 offset:120 ; 4-byte Folded Spill
	;; [unrolled: 1-line block ×3, first 2 shown]
	v_add_f64 v[148:149], v[66:67], v[148:149]
	v_add_f64 v[136:137], v[66:67], v[136:137]
	v_fma_f64 v[134:135], v[157:158], s[28:29], -v[134:135]
	v_mov_b32_e32 v120, v4
	v_mov_b32_e32 v126, v37
	;; [unrolled: 1-line block ×4, first 2 shown]
	v_add_f64 v[148:149], v[228:229], v[148:149]
	v_mul_f64 v[228:229], v[189:190], s[40:41]
	v_add_f64 v[136:137], v[146:147], v[136:137]
	v_add_f64 v[148:149], v[238:239], v[148:149]
	v_mul_f64 v[238:239], v[199:200], s[54:55]
	v_fma_f64 v[242:243], v[195:196], s[30:31], -v[228:229]
	v_fma_f64 v[146:147], v[195:196], s[30:31], v[228:229]
	v_mul_f64 v[228:229], v[161:162], s[36:37]
	v_add_f64 v[136:137], v[154:155], v[136:137]
	v_add_f64 v[148:149], v[236:237], v[148:149]
	v_fma_f64 v[232:233], v[209:210], s[10:11], -v[238:239]
	v_add_f64 v[234:235], v[242:243], v[234:235]
	v_fma_f64 v[154:155], v[209:210], s[10:11], v[238:239]
	v_add_f64 v[146:147], v[146:147], v[152:153]
	v_mul_f64 v[152:153], v[183:184], s[16:17]
	v_add_f64 v[136:137], v[150:151], v[136:137]
	v_fma_f64 v[150:151], v[207:208], s[18:19], v[228:229]
	v_add_f64 v[148:149], v[230:231], v[148:149]
	v_fma_f64 v[230:231], v[207:208], s[18:19], -v[228:229]
	v_add_f64 v[232:233], v[232:233], v[234:235]
	v_mul_f64 v[238:239], v[181:182], s[52:53]
	v_add_f64 v[146:147], v[154:155], v[146:147]
	v_fma_f64 v[154:155], v[205:206], s[2:3], -v[152:153]
	v_add_f64 v[136:137], v[142:143], v[136:137]
	v_fma_f64 v[142:143], v[205:206], s[2:3], v[152:153]
	v_add_f64 v[140:141], v[140:141], v[148:149]
	v_mul_f64 v[148:149], v[193:194], s[46:47]
	v_add_f64 v[228:229], v[230:231], v[232:233]
	v_mul_f64 v[234:235], v[177:178], s[36:37]
	v_add_f64 v[146:147], v[150:151], v[146:147]
	v_fma_f64 v[250:251], v[185:186], s[28:29], -v[238:239]
	v_add_f64 v[136:137], v[144:145], v[136:137]
	v_fma_f64 v[238:239], v[185:186], s[28:29], v[238:239]
	v_add_f64 v[138:139], v[138:139], v[140:141]
	v_fma_f64 v[150:151], v[203:204], s[20:21], -v[148:149]
	v_add_f64 v[152:153], v[154:155], v[228:229]
	v_fma_f64 v[154:155], v[163:164], s[20:21], -v[130:131]
	v_add_f64 v[142:143], v[142:143], v[146:147]
	v_mul_f64 v[146:147], v[219:220], s[24:25]
	v_fma_f64 v[246:247], v[173:174], s[18:19], v[234:235]
	v_fma_f64 v[234:235], v[173:174], s[18:19], -v[234:235]
	v_fma_f64 v[144:145], v[203:204], s[20:21], v[148:149]
	v_mul_f64 v[148:149], v[8:9], s[44:45]
	v_add_f64 v[132:133], v[150:151], v[152:153]
	v_mul_f64 v[152:153], v[179:180], s[24:25]
	v_add_f64 v[136:137], v[154:155], v[136:137]
	v_mul_f64 v[154:155], v[217:218], s[52:53]
	v_fma_f64 v[230:231], v[175:176], s[10:11], v[146:147]
	v_fma_f64 v[146:147], v[175:176], s[10:11], -v[146:147]
	v_mul_f64 v[150:151], v[10:11], s[50:51]
	v_mul_f64 v[140:141], v[191:192], s[26:27]
	v_add_f64 v[142:143], v[144:145], v[142:143]
	v_fma_f64 v[240:241], v[187:188], s[10:11], -v[152:153]
	v_fma_f64 v[152:153], v[187:188], s[10:11], v[152:153]
	v_fma_f64 v[242:243], v[171:172], s[28:29], v[154:155]
	v_add_f64 v[230:231], v[66:67], v[230:231]
	v_fma_f64 v[154:155], v[171:172], s[28:29], -v[154:155]
	v_add_f64 v[146:147], v[66:67], v[146:147]
	v_fma_f64 v[236:237], v[167:168], s[30:31], v[150:151]
	v_mul_f64 v[144:145], v[36:37], s[16:17]
	v_add_f64 v[240:241], v[64:65], v[240:241]
	v_add_f64 v[152:153], v[64:65], v[152:153]
	v_fma_f64 v[232:233], v[165:166], s[20:21], v[148:149]
	v_add_f64 v[230:231], v[242:243], v[230:231]
	v_fma_f64 v[242:243], v[169:170], s[8:9], v[244:245]
	v_add_f64 v[146:147], v[154:155], v[146:147]
	v_fma_f64 v[150:151], v[167:168], s[30:31], -v[150:151]
	v_add_f64 v[2:3], v[128:129], v[138:139]
	v_add_f64 v[240:241], v[250:251], v[240:241]
	v_add_f64 v[152:153], v[238:239], v[152:153]
	v_fma_f64 v[128:129], v[201:202], s[28:29], -v[140:141]
	v_add_f64 v[154:155], v[246:247], v[230:231]
	v_mul_f64 v[230:231], v[161:162], s[50:51]
	v_fma_f64 v[246:247], v[209:210], s[8:9], -v[252:253]
	v_add_f64 v[146:147], v[234:235], v[146:147]
	v_mul_f64 v[234:235], v[183:184], s[44:45]
	v_add_f64 v[223:224], v[223:224], v[240:241]
	v_fma_f64 v[240:241], v[169:170], s[8:9], -v[244:245]
	v_fma_f64 v[228:229], v[163:164], s[2:3], v[144:145]
	v_add_f64 v[154:155], v[242:243], v[154:155]
	v_fma_f64 v[242:243], v[195:196], s[18:19], v[248:249]
	v_fma_f64 v[238:239], v[207:208], s[30:31], -v[230:231]
	v_fma_f64 v[148:149], v[165:166], s[20:21], -v[148:149]
	v_fma_f64 v[230:231], v[207:208], s[30:31], v[230:231]
	v_add_f64 v[223:224], v[246:247], v[223:224]
	v_add_f64 v[146:147], v[240:241], v[146:147]
	v_fma_f64 v[240:241], v[209:210], s[8:9], v[252:253]
	v_add_f64 v[154:155], v[236:237], v[154:155]
	v_add_f64 v[152:153], v[242:243], v[152:153]
	v_mul_f64 v[236:237], v[193:194], s[16:17]
	v_fma_f64 v[242:243], v[205:206], s[20:21], -v[234:235]
	v_add_f64 v[0:1], v[128:129], v[132:133]
	v_add_f64 v[223:224], v[238:239], v[223:224]
	;; [unrolled: 1-line block ×3, first 2 shown]
	v_fma_f64 v[140:141], v[201:202], s[28:29], v[140:141]
	v_add_f64 v[150:151], v[232:233], v[154:155]
	v_add_f64 v[152:153], v[240:241], v[152:153]
	v_mul_f64 v[138:139], v[38:39], s[42:43]
	v_mul_f64 v[154:155], v[191:192], s[42:43]
	v_fma_f64 v[232:233], v[203:204], s[2:3], -v[236:237]
	v_add_f64 v[223:224], v[242:243], v[223:224]
	v_fma_f64 v[144:145], v[163:164], s[2:3], -v[144:145]
	v_add_f64 v[146:147], v[148:149], v[146:147]
	v_add_f64 v[150:151], v[228:229], v[150:151]
	v_fma_f64 v[228:229], v[205:206], s[20:21], v[234:235]
	v_add_f64 v[152:153], v[230:231], v[152:153]
	buffer_store_dword v0, off, s[60:63], 0 offset:128 ; 4-byte Folded Spill
	s_nop 0
	buffer_store_dword v1, off, s[60:63], 0 offset:132 ; 4-byte Folded Spill
	buffer_store_dword v2, off, s[60:63], 0 offset:136 ; 4-byte Folded Spill
	;; [unrolled: 1-line block ×3, first 2 shown]
	v_add_f64 v[2:3], v[134:135], v[136:137]
	v_add_f64 v[0:1], v[140:141], v[142:143]
	v_fma_f64 v[148:149], v[157:158], s[34:35], v[138:139]
	v_fma_f64 v[230:231], v[201:202], s[34:35], -v[154:155]
	v_add_f64 v[223:224], v[232:233], v[223:224]
	v_add_f64 v[144:145], v[144:145], v[146:147]
	v_fma_f64 v[146:147], v[203:204], s[2:3], v[236:237]
	v_add_f64 v[152:153], v[228:229], v[152:153]
	buffer_store_dword v0, off, s[60:63], 0 offset:160 ; 4-byte Folded Spill
	s_nop 0
	buffer_store_dword v1, off, s[60:63], 0 offset:164 ; 4-byte Folded Spill
	buffer_store_dword v2, off, s[60:63], 0 offset:168 ; 4-byte Folded Spill
	;; [unrolled: 1-line block ×3, first 2 shown]
	v_add_f64 v[2:3], v[148:149], v[150:151]
	v_fma_f64 v[232:233], v[157:158], s[34:35], -v[138:139]
	v_add_f64 v[0:1], v[230:231], v[223:224]
	v_mul_f64 v[148:149], v[219:220], s[26:27]
	buffer_store_dword v0, off, s[60:63], 0 offset:144 ; 4-byte Folded Spill
	s_nop 0
	buffer_store_dword v1, off, s[60:63], 0 offset:148 ; 4-byte Folded Spill
	buffer_store_dword v2, off, s[60:63], 0 offset:152 ; 4-byte Folded Spill
	;; [unrolled: 1-line block ×3, first 2 shown]
	v_add_f64 v[146:147], v[146:147], v[152:153]
	v_mul_f64 v[152:153], v[179:180], s[26:27]
	v_add_f64 v[2:3], v[232:233], v[144:145]
	v_fma_f64 v[140:141], v[201:202], s[34:35], v[154:155]
	v_mul_f64 v[154:155], v[217:218], s[56:57]
	v_fma_f64 v[228:229], v[175:176], s[28:29], v[148:149]
	v_mul_f64 v[230:231], v[181:182], s[56:57]
	v_mov_b32_e32 v137, v177
	v_mov_b32_e32 v138, v178
	v_fma_f64 v[232:233], v[187:188], s[28:29], -v[152:153]
	v_mul_f64 v[234:235], v[137:138], s[46:47]
	v_fma_f64 v[148:149], v[175:176], s[28:29], -v[148:149]
	v_fma_f64 v[236:237], v[171:172], s[8:9], v[154:155]
	v_add_f64 v[228:229], v[66:67], v[228:229]
	v_mul_f64 v[238:239], v[189:190], s[46:47]
	v_fma_f64 v[240:241], v[185:186], s[8:9], -v[230:231]
	v_mul_f64 v[242:243], v[159:160], s[48:49]
	v_add_f64 v[232:233], v[64:65], v[232:233]
	v_fma_f64 v[244:245], v[173:174], s[20:21], v[234:235]
	v_fma_f64 v[154:155], v[171:172], s[8:9], -v[154:155]
	v_add_f64 v[148:149], v[66:67], v[148:149]
	v_add_f64 v[228:229], v[236:237], v[228:229]
	v_mul_f64 v[236:237], v[199:200], s[48:49]
	v_fma_f64 v[246:247], v[195:196], s[20:21], -v[238:239]
	v_mov_b32_e32 v136, v11
	v_add_f64 v[232:233], v[240:241], v[232:233]
	v_mov_b32_e32 v135, v10
	v_mul_f64 v[240:241], v[135:136], s[16:17]
	v_fma_f64 v[248:249], v[169:170], s[34:35], v[242:243]
	v_fma_f64 v[234:235], v[173:174], s[20:21], -v[234:235]
	v_add_f64 v[148:149], v[154:155], v[148:149]
	v_add_f64 v[154:155], v[244:245], v[228:229]
	v_mul_f64 v[228:229], v[161:162], s[16:17]
	v_fma_f64 v[244:245], v[209:210], s[34:35], -v[236:237]
	v_add_f64 v[232:233], v[246:247], v[232:233]
	v_mul_f64 v[246:247], v[8:9], s[50:51]
	v_fma_f64 v[250:251], v[167:168], s[2:3], v[240:241]
	v_fma_f64 v[242:243], v[169:170], s[34:35], -v[242:243]
	v_add_f64 v[148:149], v[234:235], v[148:149]
	v_add_f64 v[154:155], v[248:249], v[154:155]
	v_mul_f64 v[234:235], v[183:184], s[50:51]
	v_fma_f64 v[248:249], v[207:208], s[2:3], -v[228:229]
	v_add_f64 v[232:233], v[244:245], v[232:233]
	v_mul_f64 v[144:145], v[36:37], s[36:37]
	v_fma_f64 v[244:245], v[165:166], s[30:31], v[246:247]
	v_fma_f64 v[240:241], v[167:168], s[2:3], -v[240:241]
	v_fma_f64 v[152:153], v[187:188], s[28:29], v[152:153]
	v_add_f64 v[148:149], v[242:243], v[148:149]
	v_add_f64 v[154:155], v[250:251], v[154:155]
	v_mul_f64 v[242:243], v[211:212], s[36:37]
	v_fma_f64 v[250:251], v[205:206], s[30:31], -v[234:235]
	v_add_f64 v[232:233], v[248:249], v[232:233]
	v_mov_b32_e32 v194, v192
	v_mov_b32_e32 v193, v191
	v_mul_f64 v[150:151], v[38:39], s[24:25]
	v_fma_f64 v[223:224], v[163:164], s[18:19], v[144:145]
	v_fma_f64 v[230:231], v[185:186], s[8:9], v[230:231]
	v_add_f64 v[152:153], v[64:65], v[152:153]
	v_add_f64 v[148:149], v[240:241], v[148:149]
	;; [unrolled: 1-line block ×3, first 2 shown]
	v_mul_f64 v[240:241], v[193:194], s[24:25]
	v_fma_f64 v[244:245], v[203:204], s[18:19], -v[242:243]
	v_add_f64 v[232:233], v[250:251], v[232:233]
	v_add_f64 v[0:1], v[140:141], v[146:147]
	v_fma_f64 v[246:247], v[165:166], s[30:31], -v[246:247]
	v_fma_f64 v[238:239], v[195:196], s[20:21], v[238:239]
	v_add_f64 v[152:153], v[230:231], v[152:153]
	v_fma_f64 v[230:231], v[157:158], s[10:11], v[150:151]
	v_add_f64 v[154:155], v[223:224], v[154:155]
	v_fma_f64 v[223:224], v[201:202], s[10:11], -v[240:241]
	v_add_f64 v[232:233], v[244:245], v[232:233]
	buffer_store_dword v0, off, s[60:63], 0 offset:192 ; 4-byte Folded Spill
	s_nop 0
	buffer_store_dword v1, off, s[60:63], 0 offset:196 ; 4-byte Folded Spill
	buffer_store_dword v2, off, s[60:63], 0 offset:200 ; 4-byte Folded Spill
	;; [unrolled: 1-line block ×3, first 2 shown]
	v_fma_f64 v[144:145], v[163:164], s[18:19], -v[144:145]
	v_add_f64 v[148:149], v[246:247], v[148:149]
	v_fma_f64 v[236:237], v[209:210], s[34:35], v[236:237]
	v_add_f64 v[152:153], v[238:239], v[152:153]
	v_add_f64 v[2:3], v[230:231], v[154:155]
	v_mul_f64 v[154:155], v[219:220], s[40:41]
	v_add_f64 v[0:1], v[223:224], v[232:233]
	v_fma_f64 v[223:224], v[207:208], s[2:3], v[228:229]
	v_mul_f64 v[228:229], v[179:180], s[40:41]
	v_fma_f64 v[150:151], v[157:158], s[10:11], -v[150:151]
	v_add_f64 v[148:149], v[144:145], v[148:149]
	v_add_f64 v[152:153], v[236:237], v[152:153]
	v_mul_f64 v[230:231], v[217:218], s[16:17]
	v_fma_f64 v[232:233], v[175:176], s[30:31], v[154:155]
	v_mul_f64 v[236:237], v[181:182], s[16:17]
	v_fma_f64 v[234:235], v[205:206], s[30:31], v[234:235]
	v_fma_f64 v[238:239], v[187:188], s[30:31], -v[228:229]
	v_mul_f64 v[244:245], v[189:190], s[52:53]
	v_add_f64 v[150:151], v[150:151], v[148:149]
	v_fma_f64 v[148:149], v[201:202], s[10:11], v[240:241]
	v_add_f64 v[152:153], v[223:224], v[152:153]
	v_fma_f64 v[223:224], v[203:204], s[18:19], v[242:243]
	v_mul_f64 v[240:241], v[137:138], s[52:53]
	v_fma_f64 v[242:243], v[171:172], s[2:3], v[230:231]
	v_add_f64 v[232:233], v[66:67], v[232:233]
	v_fma_f64 v[246:247], v[185:186], s[2:3], -v[236:237]
	v_add_f64 v[238:239], v[64:65], v[238:239]
	v_fma_f64 v[154:155], v[175:176], s[30:31], -v[154:155]
	v_add_f64 v[152:153], v[234:235], v[152:153]
	v_mul_f64 v[234:235], v[159:160], s[38:39]
	v_fma_f64 v[248:249], v[173:174], s[28:29], v[240:241]
	v_fma_f64 v[250:251], v[195:196], s[28:29], -v[244:245]
	v_add_f64 v[232:233], v[242:243], v[232:233]
	v_mul_f64 v[242:243], v[199:200], s[38:39]
	v_add_f64 v[238:239], v[246:247], v[238:239]
	v_fma_f64 v[230:231], v[171:172], s[2:3], -v[230:231]
	v_add_f64 v[154:155], v[66:67], v[154:155]
	v_mul_f64 v[246:247], v[135:136], s[48:49]
	v_fma_f64 v[252:253], v[169:170], s[18:19], v[234:235]
	v_fma_f64 v[240:241], v[173:174], s[28:29], -v[240:241]
	v_add_f64 v[232:233], v[248:249], v[232:233]
	v_mul_f64 v[248:249], v[161:162], s[48:49]
	v_fma_f64 v[225:226], v[209:210], s[18:19], -v[242:243]
	v_add_f64 v[238:239], v[250:251], v[238:239]
	v_add_f64 v[154:155], v[230:231], v[154:155]
	v_mov_b32_e32 v132, v9
	buffer_store_dword v0, off, s[60:63], 0 offset:176 ; 4-byte Folded Spill
	s_nop 0
	buffer_store_dword v1, off, s[60:63], 0 offset:180 ; 4-byte Folded Spill
	buffer_store_dword v2, off, s[60:63], 0 offset:184 ; 4-byte Folded Spill
	;; [unrolled: 1-line block ×3, first 2 shown]
	v_mov_b32_e32 v131, v8
	v_mul_f64 v[230:231], v[131:132], s[22:23]
	v_fma_f64 v[250:251], v[167:168], s[34:35], v[246:247]
	v_add_f64 v[232:233], v[252:253], v[232:233]
	v_mul_f64 v[252:253], v[183:184], s[22:23]
	v_fma_f64 v[0:1], v[207:208], s[34:35], -v[248:249]
	v_add_f64 v[2:3], v[225:226], v[238:239]
	v_fma_f64 v[225:226], v[169:170], s[18:19], -v[234:235]
	v_add_f64 v[154:155], v[240:241], v[154:155]
	v_mul_f64 v[234:235], v[36:37], s[54:55]
	v_fma_f64 v[238:239], v[165:166], s[8:9], v[230:231]
	v_add_f64 v[232:233], v[250:251], v[232:233]
	v_mul_f64 v[240:241], v[211:212], s[54:55]
	v_fma_f64 v[250:251], v[205:206], s[8:9], -v[252:253]
	v_add_f64 v[0:1], v[0:1], v[2:3]
	v_fma_f64 v[2:3], v[167:168], s[34:35], -v[246:247]
	v_add_f64 v[154:155], v[225:226], v[154:155]
	;; [unrolled: 8-line block ×3, first 2 shown]
	v_fma_f64 v[228:229], v[187:188], s[30:31], v[228:229]
	v_add_f64 v[152:153], v[223:224], v[152:153]
	v_fma_f64 v[154:155], v[157:158], s[20:21], v[225:226]
	v_add_f64 v[223:224], v[246:247], v[232:233]
	v_fma_f64 v[230:231], v[201:202], s[20:21], -v[238:239]
	v_add_f64 v[0:1], v[4:5], v[0:1]
	v_fma_f64 v[4:5], v[163:164], s[10:11], -v[234:235]
	v_add_f64 v[2:3], v[6:7], v[2:3]
	v_fma_f64 v[6:7], v[185:186], s[2:3], v[236:237]
	v_mul_f64 v[232:233], v[219:220], s[48:49]
	v_add_f64 v[228:229], v[64:65], v[228:229]
	v_mov_b32_e32 v143, v179
	v_mov_b32_e32 v144, v180
	v_add_f64 v[148:149], v[148:149], v[152:153]
	v_add_f64 v[154:155], v[154:155], v[223:224]
	;; [unrolled: 1-line block ×3, first 2 shown]
	v_fma_f64 v[0:1], v[157:158], s[20:21], -v[225:226]
	v_add_f64 v[2:3], v[4:5], v[2:3]
	v_fma_f64 v[4:5], v[195:196], s[28:29], v[244:245]
	v_mul_f64 v[223:224], v[217:218], s[24:25]
	v_fma_f64 v[225:226], v[175:176], s[34:35], v[232:233]
	v_add_f64 v[6:7], v[6:7], v[228:229]
	v_mul_f64 v[236:237], v[143:144], s[48:49]
	v_mov_b32_e32 v139, v181
	v_mov_b32_e32 v140, v182
	s_mov_b32 s51, 0x3fc7851a
	s_mov_b32 s50, s16
	v_fma_f64 v[228:229], v[209:210], s[18:19], v[242:243]
	v_mul_f64 v[230:231], v[137:138], s[50:51]
	v_fma_f64 v[234:235], v[171:172], s[10:11], v[223:224]
	v_add_f64 v[225:226], v[66:67], v[225:226]
	v_add_f64 v[4:5], v[4:5], v[6:7]
	v_mul_f64 v[242:243], v[139:140], s[24:25]
	v_fma_f64 v[244:245], v[187:188], s[34:35], -v[236:237]
	v_mov_b32_e32 v141, v189
	v_mov_b32_e32 v133, v159
	v_mov_b32_e32 v142, v190
	v_mov_b32_e32 v134, v160
	v_fma_f64 v[6:7], v[201:202], s[20:21], v[238:239]
	v_fma_f64 v[238:239], v[207:208], s[34:35], v[248:249]
	v_mul_f64 v[246:247], v[133:134], s[52:53]
	v_fma_f64 v[248:249], v[173:174], s[2:3], v[230:231]
	v_add_f64 v[225:226], v[234:235], v[225:226]
	v_add_f64 v[4:5], v[228:229], v[4:5]
	v_mul_f64 v[250:251], v[141:142], s[50:51]
	v_fma_f64 v[234:235], v[185:186], s[10:11], -v[242:243]
	v_add_f64 v[244:245], v[64:65], v[244:245]
	v_fma_f64 v[228:229], v[205:206], s[8:9], v[252:253]
	v_mul_f64 v[252:253], v[135:136], s[46:47]
	v_fma_f64 v[8:9], v[169:170], s[28:29], v[246:247]
	v_add_f64 v[10:11], v[248:249], v[225:226]
	v_add_f64 v[4:5], v[238:239], v[4:5]
	v_fma_f64 v[225:226], v[203:204], s[10:11], v[240:241]
	v_mul_f64 v[238:239], v[199:200], s[52:53]
	v_fma_f64 v[240:241], v[195:196], s[2:3], -v[250:251]
	v_add_f64 v[234:235], v[234:235], v[244:245]
	v_mul_f64 v[244:245], v[131:132], s[36:37]
	v_fma_f64 v[248:249], v[167:168], s[20:21], v[252:253]
	v_add_f64 v[8:9], v[8:9], v[10:11]
	v_add_f64 v[4:5], v[228:229], v[4:5]
	v_mul_f64 v[10:11], v[161:162], s[46:47]
	v_fma_f64 v[228:229], v[175:176], s[34:35], -v[232:233]
	v_fma_f64 v[232:233], v[209:210], s[28:29], -v[238:239]
	v_add_f64 v[234:235], v[240:241], v[234:235]
	v_mul_f64 v[240:241], v[125:126], s[40:41]
	v_fma_f64 v[254:255], v[165:166], s[18:19], v[244:245]
	v_add_f64 v[8:9], v[248:249], v[8:9]
	v_mul_f64 v[248:249], v[183:184], s[36:37]
	v_fma_f64 v[223:224], v[171:172], s[10:11], -v[223:224]
	v_add_f64 v[228:229], v[66:67], v[228:229]
	v_fma_f64 v[36:37], v[207:208], s[20:21], -v[10:11]
	v_add_f64 v[232:233], v[232:233], v[234:235]
	v_mov_b32_e32 v128, v39
	v_mov_b32_e32 v129, v211
	;; [unrolled: 1-line block ×4, first 2 shown]
	v_mul_f64 v[234:235], v[127:128], s[22:23]
	v_fma_f64 v[159:160], v[163:164], s[30:31], v[240:241]
	v_add_f64 v[8:9], v[254:255], v[8:9]
	v_mul_f64 v[254:255], v[129:130], s[40:41]
	v_fma_f64 v[230:231], v[173:174], s[2:3], -v[230:231]
	v_add_f64 v[223:224], v[223:224], v[228:229]
	v_fma_f64 v[228:229], v[205:206], s[18:19], -v[248:249]
	v_add_f64 v[36:37], v[36:37], v[232:233]
	v_add_f64 v[4:5], v[225:226], v[4:5]
	v_fma_f64 v[225:226], v[157:158], s[8:9], v[234:235]
	v_add_f64 v[8:9], v[159:160], v[8:9]
	v_fma_f64 v[232:233], v[169:170], s[28:29], -v[246:247]
	v_fma_f64 v[246:247], v[203:204], s[30:31], -v[254:255]
	v_add_f64 v[223:224], v[230:231], v[223:224]
	v_add_f64 v[230:231], v[0:1], v[2:3]
	;; [unrolled: 1-line block ×3, first 2 shown]
	v_mul_f64 v[2:3], v[219:220], s[44:45]
	v_add_f64 v[228:229], v[6:7], v[4:5]
	v_add_f64 v[225:226], v[225:226], v[8:9]
	v_fma_f64 v[0:1], v[167:168], s[20:21], -v[252:253]
	v_fma_f64 v[238:239], v[209:210], s[28:29], v[238:239]
	v_add_f64 v[4:5], v[232:233], v[223:224]
	v_fma_f64 v[223:224], v[187:188], s[34:35], v[236:237]
	v_add_f64 v[8:9], v[246:247], v[36:37]
	v_fma_f64 v[36:37], v[157:158], s[8:9], -v[234:235]
	v_mul_f64 v[234:235], v[217:218], s[40:41]
	v_fma_f64 v[236:237], v[175:176], s[20:21], v[2:3]
	v_fma_f64 v[232:233], v[165:166], s[18:19], -v[244:245]
	v_mul_f64 v[244:245], v[143:144], s[44:45]
	v_add_f64 v[0:1], v[0:1], v[4:5]
	v_fma_f64 v[4:5], v[163:164], s[30:31], -v[240:241]
	v_fma_f64 v[240:241], v[185:186], s[10:11], v[242:243]
	v_add_f64 v[223:224], v[64:65], v[223:224]
	v_mul_f64 v[246:247], v[137:138], s[24:25]
	v_fma_f64 v[242:243], v[171:172], s[30:31], v[234:235]
	v_add_f64 v[236:237], v[66:67], v[236:237]
	v_fma_f64 v[252:253], v[187:188], s[20:21], -v[244:245]
	v_add_f64 v[0:1], v[232:233], v[0:1]
	v_fma_f64 v[232:233], v[195:196], s[2:3], v[250:251]
	v_mul_f64 v[250:251], v[139:140], s[40:41]
	v_add_f64 v[223:224], v[240:241], v[223:224]
	v_mul_f64 v[240:241], v[133:134], s[16:17]
	v_fma_f64 v[177:178], v[173:174], s[10:11], v[246:247]
	v_add_f64 v[236:237], v[242:243], v[236:237]
	v_mul_f64 v[179:180], v[141:142], s[24:25]
	v_add_f64 v[252:253], v[64:65], v[252:253]
	v_fma_f64 v[10:11], v[207:208], s[20:21], v[10:11]
	v_fma_f64 v[242:243], v[185:186], s[30:31], -v[250:251]
	v_add_f64 v[223:224], v[232:233], v[223:224]
	v_mul_f64 v[232:233], v[135:136], s[56:57]
	v_fma_f64 v[181:182], v[169:170], s[2:3], v[240:241]
	v_add_f64 v[177:178], v[177:178], v[236:237]
	v_mul_f64 v[38:39], v[199:200], s[16:17]
	v_fma_f64 v[236:237], v[195:196], s[10:11], -v[179:180]
	v_mul_f64 v[191:192], v[125:126], s[42:43]
	v_add_f64 v[242:243], v[242:243], v[252:253]
	v_add_f64 v[223:224], v[238:239], v[223:224]
	v_mul_f64 v[252:253], v[131:132], s[52:53]
	v_fma_f64 v[238:239], v[167:168], s[8:9], v[232:233]
	v_add_f64 v[177:178], v[181:182], v[177:178]
	v_fma_f64 v[181:182], v[205:206], s[18:19], v[248:249]
	v_mul_f64 v[248:249], v[161:162], s[56:57]
	v_fma_f64 v[189:190], v[209:210], s[2:3], -v[38:39]
	v_add_f64 v[236:237], v[236:237], v[242:243]
	v_add_f64 v[10:11], v[10:11], v[223:224]
	v_fma_f64 v[223:224], v[165:166], s[28:29], v[252:253]
	v_mul_f64 v[159:160], v[193:194], s[22:23]
	v_add_f64 v[177:178], v[238:239], v[177:178]
	v_fma_f64 v[238:239], v[203:204], s[30:31], v[254:255]
	v_mul_f64 v[254:255], v[183:184], s[52:53]
	v_fma_f64 v[242:243], v[207:208], s[8:9], -v[248:249]
	v_add_f64 v[189:190], v[189:190], v[236:237]
	v_add_f64 v[10:11], v[181:182], v[10:11]
	v_mul_f64 v[181:182], v[127:128], s[38:39]
	v_fma_f64 v[236:237], v[163:164], s[34:35], v[191:192]
	v_add_f64 v[177:178], v[223:224], v[177:178]
	v_add_f64 v[0:1], v[4:5], v[0:1]
	v_fma_f64 v[2:3], v[175:176], s[20:21], -v[2:3]
	v_fma_f64 v[6:7], v[201:202], s[8:9], -v[159:160]
	v_mul_f64 v[4:5], v[129:130], s[42:43]
	v_fma_f64 v[223:224], v[205:206], s[28:29], -v[254:255]
	v_add_f64 v[189:190], v[242:243], v[189:190]
	v_add_f64 v[10:11], v[238:239], v[10:11]
	v_fma_f64 v[242:243], v[157:158], s[18:19], v[181:182]
	v_add_f64 v[177:178], v[236:237], v[177:178]
	v_add_f64 v[238:239], v[36:37], v[0:1]
	v_fma_f64 v[0:1], v[171:172], s[30:31], -v[234:235]
	v_add_f64 v[2:3], v[66:67], v[2:3]
	v_fma_f64 v[159:160], v[201:202], s[8:9], v[159:160]
	v_fma_f64 v[211:212], v[203:204], s[34:35], -v[4:5]
	v_add_f64 v[189:190], v[223:224], v[189:190]
	v_add_f64 v[223:224], v[6:7], v[8:9]
	;; [unrolled: 1-line block ×3, first 2 shown]
	v_fma_f64 v[6:7], v[157:158], s[18:19], -v[181:182]
	v_fma_f64 v[8:9], v[187:188], s[20:21], v[244:245]
	v_fma_f64 v[177:178], v[173:174], s[10:11], -v[246:247]
	v_mul_f64 v[181:182], v[219:220], s[36:37]
	v_add_f64 v[0:1], v[0:1], v[2:3]
	v_add_f64 v[236:237], v[159:160], v[10:11]
	;; [unrolled: 1-line block ×3, first 2 shown]
	v_fma_f64 v[159:160], v[163:164], s[34:35], -v[191:192]
	v_fma_f64 v[191:192], v[185:186], s[30:31], v[250:251]
	v_add_f64 v[8:9], v[64:65], v[8:9]
	v_fma_f64 v[211:212], v[169:170], s[2:3], -v[240:241]
	v_mul_f64 v[217:218], v[217:218], s[44:45]
	v_fma_f64 v[219:220], v[175:176], s[18:19], v[181:182]
	v_add_f64 v[0:1], v[177:178], v[0:1]
	v_fma_f64 v[189:190], v[167:168], s[8:9], -v[232:233]
	v_fma_f64 v[177:178], v[195:196], s[10:11], v[179:180]
	v_mul_f64 v[179:180], v[137:138], s[48:49]
	v_add_f64 v[8:9], v[191:192], v[8:9]
	v_fma_f64 v[2:3], v[165:166], s[28:29], -v[252:253]
	v_fma_f64 v[191:192], v[171:172], s[20:21], v[217:218]
	v_add_f64 v[219:220], v[66:67], v[219:220]
	v_add_f64 v[0:1], v[211:212], v[0:1]
	v_mul_f64 v[76:77], v[133:134], s[40:41]
	v_fma_f64 v[38:39], v[209:210], s[2:3], v[38:39]
	v_fma_f64 v[78:79], v[173:174], s[34:35], v[179:180]
	v_add_f64 v[8:9], v[177:178], v[8:9]
	v_fma_f64 v[4:5], v[203:204], s[34:35], v[4:5]
	v_mul_f64 v[82:83], v[129:130], s[22:23]
	v_add_f64 v[177:178], v[191:192], v[219:220]
	v_add_f64 v[0:1], v[189:190], v[0:1]
	v_fma_f64 v[72:73], v[169:170], s[30:31], v[76:77]
	v_fma_f64 v[76:77], v[169:170], s[30:31], -v[76:77]
	v_fma_f64 v[189:190], v[207:208], s[8:9], v[248:249]
	v_add_f64 v[8:9], v[38:39], v[8:9]
	v_mul_f64 v[38:39], v[135:136], s[26:27]
	v_mul_f64 v[197:198], v[193:194], s[38:39]
	v_add_f64 v[74:75], v[78:79], v[177:178]
	v_add_f64 v[0:1], v[2:3], v[0:1]
	v_fma_f64 v[2:3], v[205:206], s[28:29], v[254:255]
	v_mov_b32_e32 v255, v124
	buffer_load_dword v124, off, s[60:63], 0 offset:48 ; 4-byte Folded Reload
	v_add_f64 v[8:9], v[189:190], v[8:9]
	v_fma_f64 v[84:85], v[167:168], s[28:29], v[38:39]
	v_fma_f64 v[38:39], v[167:168], s[28:29], -v[38:39]
	v_add_f64 v[72:73], v[72:73], v[74:75]
	v_add_f64 v[0:1], v[159:160], v[0:1]
	;; [unrolled: 1-line block ×3, first 2 shown]
	v_fma_f64 v[159:160], v[171:172], s[20:21], -v[217:218]
	v_mul_f64 v[78:79], v[131:132], s[24:25]
	v_add_f64 v[2:3], v[2:3], v[8:9]
	v_mul_f64 v[8:9], v[125:126], s[22:23]
	v_fma_f64 v[10:11], v[201:202], s[18:19], -v[197:198]
	v_add_f64 v[72:73], v[84:85], v[72:73]
	v_add_f64 v[68:69], v[6:7], v[0:1]
	v_add_f64 v[6:7], v[70:71], v[102:103]
	v_add_f64 v[70:71], v[74:75], v[100:101]
	v_mul_f64 v[84:85], v[143:144], s[36:37]
	v_fma_f64 v[100:101], v[175:176], s[18:19], -v[181:182]
	v_mul_f64 v[102:103], v[139:140], s[44:45]
	v_fma_f64 v[80:81], v[165:166], s[10:11], v[78:79]
	v_fma_f64 v[78:79], v[165:166], s[10:11], -v[78:79]
	v_add_f64 v[74:75], v[4:5], v[2:3]
	v_add_f64 v[6:7], v[6:7], v[90:91]
	v_add_f64 v[70:71], v[70:71], v[88:89]
	v_mul_f64 v[90:91], v[199:200], s[40:41]
	v_add_f64 v[66:67], v[66:67], v[100:101]
	v_fma_f64 v[100:101], v[185:186], s[20:21], v[102:103]
	v_mul_f64 v[88:89], v[161:162], s[26:27]
	v_mul_f64 v[2:3], v[127:128], s[16:17]
	v_fma_f64 v[4:5], v[163:164], s[8:9], v[8:9]
	v_add_f64 v[6:7], v[6:7], v[106:107]
	v_add_f64 v[70:71], v[70:71], v[104:105]
	v_fma_f64 v[104:105], v[187:188], s[18:19], v[84:85]
	v_fma_f64 v[84:85], v[187:188], s[18:19], -v[84:85]
	v_mul_f64 v[106:107], v[141:142], s[48:49]
	v_add_f64 v[66:67], v[159:160], v[66:67]
	v_fma_f64 v[8:9], v[163:164], s[8:9], -v[8:9]
	v_add_f64 v[72:73], v[80:81], v[72:73]
	v_add_f64 v[6:7], v[6:7], v[94:95]
	v_add_f64 v[70:71], v[70:71], v[92:93]
	v_add_f64 v[92:93], v[64:65], v[104:105]
	v_fma_f64 v[94:95], v[185:186], s[20:21], -v[102:103]
	v_add_f64 v[64:65], v[64:65], v[84:85]
	v_fma_f64 v[84:85], v[173:174], s[34:35], -v[179:180]
	v_fma_f64 v[102:103], v[195:196], s[34:35], v[106:107]
	v_mul_f64 v[80:81], v[193:194], s[16:17]
	v_add_f64 v[6:7], v[6:7], v[110:111]
	v_add_f64 v[70:71], v[70:71], v[108:109]
	;; [unrolled: 1-line block ×3, first 2 shown]
	v_fma_f64 v[100:101], v[195:196], s[34:35], -v[106:107]
	v_add_f64 v[64:65], v[94:95], v[64:65]
	v_add_f64 v[66:67], v[84:85], v[66:67]
	v_fma_f64 v[84:85], v[209:210], s[30:31], v[90:91]
	v_fma_f64 v[90:91], v[209:210], s[30:31], -v[90:91]
	v_add_f64 v[6:7], v[6:7], v[98:99]
	v_add_f64 v[70:71], v[70:71], v[96:97]
	;; [unrolled: 1-line block ×3, first 2 shown]
	v_fma_f64 v[0:1], v[201:202], s[18:19], v[197:198]
	v_add_f64 v[64:65], v[100:101], v[64:65]
	v_add_f64 v[66:67], v[76:77], v[66:67]
	v_fma_f64 v[76:77], v[207:208], s[28:29], v[88:89]
	v_fma_f64 v[88:89], v[207:208], s[28:29], -v[88:89]
	v_add_f64 v[6:7], v[6:7], v[118:119]
	v_add_f64 v[70:71], v[70:71], v[116:117]
	;; [unrolled: 1-line block ×6, first 2 shown]
	v_fma_f64 v[66:67], v[205:206], s[10:11], v[86:87]
	v_add_f64 v[240:241], v[10:11], v[36:37]
	v_add_f64 v[6:7], v[6:7], v[114:115]
	;; [unrolled: 1-line block ×4, first 2 shown]
	v_fma_f64 v[84:85], v[205:206], s[10:11], -v[86:87]
	v_add_f64 v[64:65], v[88:89], v[64:65]
	v_add_f64 v[38:39], v[78:79], v[38:39]
	v_fma_f64 v[78:79], v[203:204], s[8:9], v[82:83]
	v_add_f64 v[6:7], v[6:7], v[122:123]
	buffer_load_dword v123, off, s[60:63], 0 offset:40 ; 4-byte Folded Reload
	buffer_load_dword v122, off, s[60:63], 0 offset:32 ; 4-byte Folded Reload
	v_add_f64 v[70:71], v[70:71], v[120:121]
	buffer_load_dword v121, off, s[60:63], 0 offset:24 ; 4-byte Folded Reload
	buffer_load_dword v120, off, s[60:63], 0 offset:16 ; 4-byte Folded Reload
	;; [unrolled: 3-line block ×3, first 2 shown]
	buffer_load_dword v86, off, s[60:63], 0 offset:80 ; 4-byte Folded Reload
	buffer_load_dword v87, off, s[60:63], 0 offset:84 ; 4-byte Folded Reload
	v_add_f64 v[66:67], v[66:67], v[76:77]
	v_fma_f64 v[76:77], v[203:204], s[8:9], -v[82:83]
	v_fma_f64 v[82:83], v[157:158], s[2:3], -v[2:3]
	v_add_f64 v[8:9], v[8:9], v[38:39]
	v_fma_f64 v[38:39], v[201:202], s[2:3], v[80:81]
	v_fma_f64 v[80:81], v[201:202], s[2:3], -v[80:81]
	v_add_f64 v[66:67], v[78:79], v[66:67]
	v_fma_f64 v[78:79], v[157:158], s[2:3], v[2:3]
	v_add_f64 v[64:65], v[76:77], v[64:65]
	v_add_f64 v[4:5], v[82:83], v[8:9]
	;; [unrolled: 1-line block ×4, first 2 shown]
	v_mul_lo_u16_e32 v0, 17, v255
	v_add_f64 v[72:73], v[78:79], v[72:73]
	s_waitcnt vmcnt(2)
	v_add_f64 v[70:71], v[70:71], v[84:85]
	buffer_load_dword v82, off, s[60:63], 0 offset:56 ; 4-byte Folded Reload
	buffer_load_dword v83, off, s[60:63], 0 offset:60 ; 4-byte Folded Reload
	;; [unrolled: 1-line block ×5, first 2 shown]
	s_waitcnt vmcnt(5)
	v_add_f64 v[6:7], v[6:7], v[86:87]
	s_waitcnt vmcnt(1)
	v_add_f64 v[8:9], v[6:7], v[84:85]
	v_add_f64 v[6:7], v[70:71], v[82:83]
	s_waitcnt vmcnt(0)
	v_lshl_add_u32 v0, v0, 4, v1
	ds_write_b128 v0, v[6:9]
	ds_write_b128 v0, v[2:5] offset:16
	ds_write_b128 v0, v[66:69] offset:32
	;; [unrolled: 1-line block ×5, first 2 shown]
	buffer_load_dword v228, off, s[60:63], 0 ; 4-byte Folded Reload
	buffer_load_dword v1, off, s[60:63], 0 offset:192 ; 4-byte Folded Reload
	buffer_load_dword v2, off, s[60:63], 0 offset:196 ; 4-byte Folded Reload
	;; [unrolled: 1-line block ×4, first 2 shown]
	v_add_f64 v[70:71], v[80:81], v[64:65]
	s_waitcnt vmcnt(0)
	ds_write_b128 v0, v[1:4] offset:96
	buffer_load_dword v1, off, s[60:63], 0 offset:160 ; 4-byte Folded Reload
	buffer_load_dword v2, off, s[60:63], 0 offset:164 ; 4-byte Folded Reload
	buffer_load_dword v3, off, s[60:63], 0 offset:168 ; 4-byte Folded Reload
	buffer_load_dword v4, off, s[60:63], 0 offset:172 ; 4-byte Folded Reload
	s_waitcnt vmcnt(0)
	ds_write_b128 v0, v[1:4] offset:112
	buffer_load_dword v1, off, s[60:63], 0 offset:112 ; 4-byte Folded Reload
	buffer_load_dword v2, off, s[60:63], 0 offset:116 ; 4-byte Folded Reload
	buffer_load_dword v3, off, s[60:63], 0 offset:120 ; 4-byte Folded Reload
	buffer_load_dword v4, off, s[60:63], 0 offset:124 ; 4-byte Folded Reload
	;; [unrolled: 6-line block ×6, first 2 shown]
	s_waitcnt vmcnt(0)
	ds_write_b128 v0, v[1:4] offset:192
	ds_write_b128 v0, v[152:155] offset:208
	;; [unrolled: 1-line block ×5, first 2 shown]
.LBB0_13:
	s_or_b64 exec, exec, s[0:1]
	s_waitcnt lgkmcnt(0)
	; wave barrier
	s_waitcnt lgkmcnt(0)
	ds_read_b128 v[0:3], v221
	ds_read_b128 v[4:7], v221 offset:272
	ds_read_b128 v[8:11], v221 offset:544
	;; [unrolled: 1-line block ×11, first 2 shown]
	s_waitcnt lgkmcnt(9)
	v_mul_f64 v[36:37], v[30:31], v[10:11]
	v_mul_f64 v[38:39], v[30:31], v[8:9]
	s_waitcnt lgkmcnt(7)
	v_mul_f64 v[108:109], v[26:27], v[70:71]
	v_mul_f64 v[110:111], v[26:27], v[68:69]
	;; [unrolled: 3-line block ×3, first 2 shown]
	ds_read_b128 v[100:103], v221 offset:3264
	ds_read_b128 v[104:107], v221 offset:3536
	v_mul_f64 v[116:117], v[30:31], v[66:67]
	v_fma_f64 v[8:9], v[28:29], v[8:9], v[36:37]
	v_fma_f64 v[10:11], v[28:29], v[10:11], -v[38:39]
	v_fma_f64 v[36:37], v[24:25], v[68:69], v[108:109]
	v_fma_f64 v[38:39], v[24:25], v[70:71], -v[110:111]
	;; [unrolled: 2-line block ×3, first 2 shown]
	s_waitcnt lgkmcnt(5)
	v_mul_f64 v[76:77], v[18:19], v[86:87]
	v_mul_f64 v[78:79], v[18:19], v[84:85]
	s_waitcnt lgkmcnt(3)
	v_mul_f64 v[108:109], v[34:35], v[94:95]
	v_mul_f64 v[110:111], v[34:35], v[92:93]
	;; [unrolled: 3-line block ×3, first 2 shown]
	v_mul_f64 v[30:31], v[30:31], v[64:65]
	v_fma_f64 v[64:65], v[28:29], v[64:65], v[116:117]
	v_fma_f64 v[76:77], v[16:17], v[84:85], v[76:77]
	v_fma_f64 v[78:79], v[16:17], v[86:87], -v[78:79]
	v_fma_f64 v[84:85], v[32:33], v[92:93], v[108:109]
	v_fma_f64 v[86:87], v[32:33], v[94:95], -v[110:111]
	;; [unrolled: 2-line block ×3, first 2 shown]
	v_fma_f64 v[28:29], v[28:29], v[66:67], -v[30:31]
	v_mul_f64 v[30:31], v[26:27], v[74:75]
	v_mul_f64 v[26:27], v[26:27], v[72:73]
	v_mul_f64 v[66:67], v[22:23], v[82:83]
	v_mul_f64 v[22:23], v[22:23], v[80:81]
	v_mul_f64 v[100:101], v[18:19], v[90:91]
	v_mul_f64 v[18:19], v[18:19], v[88:89]
	v_mul_f64 v[102:103], v[34:35], v[98:99]
	v_mul_f64 v[34:35], v[34:35], v[96:97]
	v_fma_f64 v[30:31], v[24:25], v[72:73], v[30:31]
	v_fma_f64 v[72:73], v[24:25], v[74:75], -v[26:27]
	v_fma_f64 v[66:67], v[20:21], v[80:81], v[66:67]
	v_fma_f64 v[74:75], v[20:21], v[82:83], -v[22:23]
	v_add_f64 v[20:21], v[10:11], v[94:95]
	v_fma_f64 v[82:83], v[16:17], v[90:91], -v[18:19]
	v_add_f64 v[18:19], v[8:9], v[92:93]
	v_add_f64 v[22:23], v[36:37], v[84:85]
	;; [unrolled: 1-line block ×3, first 2 shown]
	v_fma_f64 v[80:81], v[16:17], v[88:89], v[100:101]
	v_fma_f64 v[88:89], v[32:33], v[96:97], v[102:103]
	v_fma_f64 v[32:33], v[32:33], v[98:99], -v[34:35]
	v_add_f64 v[8:9], v[8:9], -v[92:93]
	v_add_f64 v[10:11], v[10:11], -v[94:95]
	;; [unrolled: 1-line block ×4, first 2 shown]
	v_add_f64 v[36:37], v[68:69], v[76:77]
	v_add_f64 v[38:39], v[70:71], v[78:79]
	v_add_f64 v[68:69], v[76:77], -v[68:69]
	v_add_f64 v[70:71], v[78:79], -v[70:71]
	v_add_f64 v[76:77], v[22:23], v[18:19]
	v_add_f64 v[78:79], v[24:25], v[20:21]
	v_add_f64 v[84:85], v[22:23], -v[18:19]
	v_add_f64 v[86:87], v[24:25], -v[20:21]
	;; [unrolled: 1-line block ×6, first 2 shown]
	v_add_f64 v[90:91], v[68:69], v[26:27]
	v_add_f64 v[92:93], v[70:71], v[34:35]
	v_add_f64 v[94:95], v[68:69], -v[26:27]
	v_add_f64 v[96:97], v[70:71], -v[34:35]
	v_add_f64 v[36:37], v[36:37], v[76:77]
	v_add_f64 v[38:39], v[38:39], v[78:79]
	v_add_f64 v[26:27], v[26:27], -v[8:9]
	v_add_f64 v[34:35], v[34:35], -v[10:11]
	s_mov_b32 s2, 0x37e14327
	s_mov_b32 s0, 0x36b3c0b5
	;; [unrolled: 1-line block ×8, first 2 shown]
	v_add_f64 v[68:69], v[8:9], -v[68:69]
	v_add_f64 v[70:71], v[10:11], -v[70:71]
	v_add_f64 v[8:9], v[90:91], v[8:9]
	v_add_f64 v[10:11], v[92:93], v[10:11]
	;; [unrolled: 1-line block ×4, first 2 shown]
	v_mul_f64 v[18:19], v[18:19], s[2:3]
	v_mul_f64 v[20:21], v[20:21], s[2:3]
	;; [unrolled: 1-line block ×8, first 2 shown]
	s_mov_b32 s16, 0xaaaaaaaa
	s_mov_b32 s18, 0x5476071b
	;; [unrolled: 1-line block ×10, first 2 shown]
	s_waitcnt lgkmcnt(0)
	v_mul_f64 v[16:17], v[14:15], v[106:107]
	v_mul_f64 v[14:15], v[14:15], v[104:105]
	v_fma_f64 v[36:37], v[36:37], s[16:17], v[0:1]
	v_fma_f64 v[38:39], v[38:39], s[16:17], v[2:3]
	v_fma_f64 v[22:23], v[22:23], s[0:1], v[18:19]
	v_fma_f64 v[24:25], v[24:25], s[0:1], v[20:21]
	v_fma_f64 v[76:77], v[84:85], s[18:19], -v[76:77]
	v_fma_f64 v[78:79], v[86:87], s[18:19], -v[78:79]
	;; [unrolled: 1-line block ×4, first 2 shown]
	v_fma_f64 v[84:85], v[68:69], s[22:23], v[90:91]
	v_fma_f64 v[86:87], v[70:71], s[22:23], v[92:93]
	v_fma_f64 v[26:27], v[26:27], s[8:9], -v[90:91]
	v_fma_f64 v[34:35], v[34:35], s[8:9], -v[92:93]
	;; [unrolled: 1-line block ×4, first 2 shown]
	s_mov_b32 s24, 0x37c3f68c
	s_mov_b32 s25, 0xbfdc38aa
	v_add_f64 v[90:91], v[22:23], v[36:37]
	v_add_f64 v[92:93], v[24:25], v[38:39]
	;; [unrolled: 1-line block ×6, first 2 shown]
	v_fma_f64 v[78:79], v[8:9], s[24:25], v[84:85]
	v_fma_f64 v[70:71], v[10:11], s[24:25], v[70:71]
	;; [unrolled: 1-line block ×6, first 2 shown]
	v_fma_f64 v[84:85], v[12:13], v[106:107], -v[14:15]
	v_fma_f64 v[76:77], v[10:11], s[24:25], v[86:87]
	v_add_f64 v[10:11], v[92:93], -v[78:79]
	v_add_f64 v[12:13], v[70:71], v[36:37]
	v_add_f64 v[14:15], v[38:39], -v[68:69]
	v_add_f64 v[16:17], v[22:23], -v[20:21]
	v_add_f64 v[18:19], v[26:27], v[24:25]
	v_add_f64 v[20:21], v[20:21], v[22:23]
	v_add_f64 v[22:23], v[24:25], -v[26:27]
	v_add_f64 v[24:25], v[36:37], -v[70:71]
	v_add_f64 v[26:27], v[68:69], v[38:39]
	v_add_f64 v[36:37], v[64:65], v[34:35]
	;; [unrolled: 1-line block ×3, first 2 shown]
	v_add_f64 v[34:35], v[64:65], -v[34:35]
	v_add_f64 v[64:65], v[30:31], v[88:89]
	v_add_f64 v[68:69], v[72:73], v[32:33]
	v_add_f64 v[28:29], v[28:29], -v[84:85]
	v_add_f64 v[30:31], v[30:31], -v[88:89]
	;; [unrolled: 1-line block ×3, first 2 shown]
	v_add_f64 v[70:71], v[66:67], v[80:81]
	v_add_f64 v[72:73], v[74:75], v[82:83]
	v_add_f64 v[66:67], v[80:81], -v[66:67]
	v_add_f64 v[74:75], v[82:83], -v[74:75]
	v_add_f64 v[80:81], v[64:65], v[36:37]
	v_add_f64 v[82:83], v[68:69], v[38:39]
	v_add_f64 v[84:85], v[64:65], -v[36:37]
	v_add_f64 v[86:87], v[68:69], -v[38:39]
	;; [unrolled: 1-line block ×6, first 2 shown]
	v_add_f64 v[88:89], v[66:67], v[30:31]
	v_add_f64 v[94:95], v[74:75], v[32:33]
	v_add_f64 v[96:97], v[66:67], -v[30:31]
	v_add_f64 v[98:99], v[74:75], -v[32:33]
	v_add_f64 v[70:71], v[70:71], v[80:81]
	v_add_f64 v[72:73], v[72:73], v[82:83]
	v_add_f64 v[30:31], v[30:31], -v[34:35]
	v_add_f64 v[32:33], v[32:33], -v[28:29]
	;; [unrolled: 1-line block ×4, first 2 shown]
	v_add_f64 v[34:35], v[88:89], v[34:35]
	v_add_f64 v[28:29], v[94:95], v[28:29]
	;; [unrolled: 1-line block ×4, first 2 shown]
	v_mul_f64 v[36:37], v[36:37], s[2:3]
	v_mul_f64 v[38:39], v[38:39], s[2:3]
	;; [unrolled: 1-line block ×8, first 2 shown]
	v_fma_f64 v[70:71], v[70:71], s[16:17], v[4:5]
	v_fma_f64 v[72:73], v[72:73], s[16:17], v[6:7]
	;; [unrolled: 1-line block ×4, first 2 shown]
	v_fma_f64 v[80:81], v[84:85], s[18:19], -v[80:81]
	v_fma_f64 v[82:83], v[86:87], s[18:19], -v[82:83]
	;; [unrolled: 1-line block ×4, first 2 shown]
	v_fma_f64 v[84:85], v[66:67], s[22:23], v[88:89]
	v_fma_f64 v[86:87], v[74:75], s[22:23], v[94:95]
	v_fma_f64 v[66:67], v[66:67], s[26:27], -v[96:97]
	v_fma_f64 v[74:75], v[74:75], s[26:27], -v[98:99]
	;; [unrolled: 1-line block ×4, first 2 shown]
	v_add_f64 v[88:89], v[64:65], v[70:71]
	v_add_f64 v[94:95], v[68:69], v[72:73]
	;; [unrolled: 1-line block ×4, first 2 shown]
	v_fma_f64 v[86:87], v[28:29], s[24:25], v[86:87]
	v_fma_f64 v[84:85], v[34:35], s[24:25], v[84:85]
	;; [unrolled: 1-line block ×4, first 2 shown]
	v_add_f64 v[80:81], v[80:81], v[70:71]
	v_add_f64 v[82:83], v[82:83], v[72:73]
	v_fma_f64 v[72:73], v[28:29], s[24:25], v[32:33]
	v_fma_f64 v[74:75], v[34:35], s[24:25], v[30:31]
	v_add_f64 v[8:9], v[76:77], v[90:91]
	v_add_f64 v[28:29], v[90:91], -v[76:77]
	v_add_f64 v[30:31], v[78:79], v[92:93]
	v_add_f64 v[32:33], v[86:87], v[88:89]
	v_add_f64 v[34:35], v[94:95], -v[84:85]
	v_add_f64 v[64:65], v[96:97], v[36:37]
	v_add_f64 v[66:67], v[38:39], -v[98:99]
	v_add_f64 v[68:69], v[80:81], -v[72:73]
	v_add_f64 v[70:71], v[74:75], v[82:83]
	v_add_f64 v[72:73], v[72:73], v[80:81]
	v_add_f64 v[74:75], v[82:83], -v[74:75]
	v_add_f64 v[76:77], v[36:37], -v[96:97]
	v_add_f64 v[78:79], v[98:99], v[38:39]
	v_add_f64 v[80:81], v[88:89], -v[86:87]
	v_add_f64 v[82:83], v[84:85], v[94:95]
	s_waitcnt lgkmcnt(0)
	; wave barrier
	ds_write_b128 v221, v[0:3]
	ds_write_b128 v221, v[8:11] offset:272
	ds_write_b128 v221, v[12:15] offset:544
	;; [unrolled: 1-line block ×13, first 2 shown]
	s_waitcnt lgkmcnt(0)
	; wave barrier
	s_waitcnt lgkmcnt(0)
	ds_read_b128 v[0:3], v221 offset:1904
	ds_read_b128 v[4:7], v221
	ds_read_b128 v[8:11], v221 offset:272
	ds_read_b128 v[12:15], v221 offset:2176
	;; [unrolled: 1-line block ×8, first 2 shown]
	s_waitcnt lgkmcnt(9)
	v_mul_f64 v[36:37], v[215:216], v[2:3]
	v_mul_f64 v[38:39], v[215:216], v[0:1]
	s_waitcnt lgkmcnt(6)
	v_mul_f64 v[84:85], v[46:47], v[14:15]
	v_mul_f64 v[46:47], v[46:47], v[12:13]
	ds_read_b128 v[68:71], v221 offset:1088
	ds_read_b128 v[72:75], v221 offset:1360
	;; [unrolled: 1-line block ×4, first 2 shown]
	v_fma_f64 v[0:1], v[213:214], v[0:1], v[36:37]
	v_fma_f64 v[2:3], v[213:214], v[2:3], -v[38:39]
	s_waitcnt lgkmcnt(9)
	v_mul_f64 v[36:37], v[42:43], v[18:19]
	v_mul_f64 v[38:39], v[42:43], v[16:17]
	s_waitcnt lgkmcnt(6)
	v_mul_f64 v[42:43], v[50:51], v[30:31]
	v_fma_f64 v[12:13], v[44:45], v[12:13], v[84:85]
	v_fma_f64 v[14:15], v[44:45], v[14:15], -v[46:47]
	v_mul_f64 v[44:45], v[50:51], v[28:29]
	s_waitcnt lgkmcnt(5)
	v_mul_f64 v[46:47], v[58:59], v[34:35]
	v_mul_f64 v[50:51], v[58:59], v[32:33]
	s_waitcnt lgkmcnt(1)
	v_mul_f64 v[58:59], v[62:63], v[78:79]
	v_mul_f64 v[62:63], v[62:63], v[76:77]
	v_fma_f64 v[16:17], v[40:41], v[16:17], v[36:37]
	v_fma_f64 v[18:19], v[40:41], v[18:19], -v[38:39]
	v_fma_f64 v[28:29], v[48:49], v[28:29], v[42:43]
	s_waitcnt lgkmcnt(0)
	v_mul_f64 v[40:41], v[54:55], v[82:83]
	v_mul_f64 v[42:43], v[54:55], v[80:81]
	v_fma_f64 v[30:31], v[48:49], v[30:31], -v[44:45]
	v_fma_f64 v[32:33], v[56:57], v[32:33], v[46:47]
	v_fma_f64 v[34:35], v[56:57], v[34:35], -v[50:51]
	v_fma_f64 v[36:37], v[60:61], v[76:77], v[58:59]
	v_fma_f64 v[38:39], v[60:61], v[78:79], -v[62:63]
	v_add_f64 v[0:1], v[4:5], -v[0:1]
	v_add_f64 v[2:3], v[6:7], -v[2:3]
	v_fma_f64 v[40:41], v[52:53], v[80:81], v[40:41]
	v_fma_f64 v[42:43], v[52:53], v[82:83], -v[42:43]
	v_add_f64 v[12:13], v[8:9], -v[12:13]
	v_add_f64 v[14:15], v[10:11], -v[14:15]
	;; [unrolled: 1-line block ×6, first 2 shown]
	v_fma_f64 v[4:5], v[4:5], 2.0, -v[0:1]
	v_fma_f64 v[6:7], v[6:7], 2.0, -v[2:3]
	v_add_f64 v[32:33], v[68:69], -v[32:33]
	v_add_f64 v[34:35], v[70:71], -v[34:35]
	;; [unrolled: 1-line block ×6, first 2 shown]
	v_fma_f64 v[8:9], v[8:9], 2.0, -v[12:13]
	v_fma_f64 v[10:11], v[10:11], 2.0, -v[14:15]
	;; [unrolled: 1-line block ×12, first 2 shown]
	ds_write_b128 v222, v[4:7]
	ds_write_b128 v222, v[0:3] offset:1904
	ds_write_b128 v222, v[8:11] offset:272
	;; [unrolled: 1-line block ×13, first 2 shown]
	s_waitcnt lgkmcnt(0)
	; wave barrier
	s_waitcnt lgkmcnt(0)
	s_and_b64 exec, exec, vcc
	s_cbranch_execz .LBB0_15
; %bb.14:
	global_load_dwordx4 v[3:6], v227, s[12:13]
	ds_read_b128 v[7:10], v222
	v_lshl_add_u32 v2, v228, 4, v227
	ds_read_b128 v[11:14], v2 offset:224
	v_mad_u64_u32 v[0:1], s[0:1], s6, v156, 0
	v_mad_u64_u32 v[15:16], s[0:1], s4, v255, 0
	;; [unrolled: 1-line block ×3, first 2 shown]
	s_mul_i32 s3, s5, 0xe0
	s_mul_hi_u32 s6, s4, 0xe0
	v_mov_b32_e32 v1, v19
	v_lshlrev_b64 v[0:1], 4, v[0:1]
	s_mul_i32 s2, s4, 0xe0
	v_add_co_u32_e32 v0, vcc, s14, v0
	s_add_i32 s3, s6, s3
	s_waitcnt vmcnt(0) lgkmcnt(1)
	v_mul_f64 v[17:18], v[9:10], v[5:6]
	v_mul_f64 v[5:6], v[7:8], v[5:6]
	v_fma_f64 v[7:8], v[7:8], v[3:4], v[17:18]
	v_fma_f64 v[5:6], v[3:4], v[9:10], -v[5:6]
	v_mad_u64_u32 v[20:21], s[0:1], s5, v255, v[16:17]
	s_mov_b32 s0, 0x1135c811
	s_mov_b32 s1, 0x3f7135c8
	v_mov_b32_e32 v16, v20
	v_mov_b32_e32 v17, s15
	v_mul_f64 v[3:4], v[7:8], s[0:1]
	v_mul_f64 v[5:6], v[5:6], s[0:1]
	v_lshlrev_b64 v[9:10], 4, v[15:16]
	v_addc_co_u32_e32 v1, vcc, v17, v1, vcc
	v_add_co_u32_e32 v7, vcc, v0, v9
	v_addc_co_u32_e32 v8, vcc, v1, v10, vcc
	global_store_dwordx4 v[7:8], v[3:6], off
	global_load_dwordx4 v[3:6], v227, s[12:13] offset:224
	v_add_co_u32_e32 v15, vcc, s2, v7
	v_or_b32_e32 v21, 0x70, v255
	v_mad_u64_u32 v[19:20], s[6:7], s4, v21, 0
	s_waitcnt vmcnt(0) lgkmcnt(0)
	v_mul_f64 v[9:10], v[13:14], v[5:6]
	v_mul_f64 v[5:6], v[11:12], v[5:6]
	v_fma_f64 v[9:10], v[11:12], v[3:4], v[9:10]
	v_fma_f64 v[5:6], v[3:4], v[13:14], -v[5:6]
	v_mul_f64 v[3:4], v[9:10], s[0:1]
	v_mul_f64 v[5:6], v[5:6], s[0:1]
	v_mov_b32_e32 v9, s3
	v_addc_co_u32_e32 v16, vcc, v8, v9, vcc
	global_store_dwordx4 v[15:16], v[3:6], off
	global_load_dwordx4 v[3:6], v227, s[12:13] offset:448
	ds_read_b128 v[7:10], v2 offset:448
	ds_read_b128 v[11:14], v2 offset:672
	s_waitcnt vmcnt(0) lgkmcnt(1)
	v_mul_f64 v[17:18], v[9:10], v[5:6]
	v_mul_f64 v[5:6], v[7:8], v[5:6]
	v_fma_f64 v[7:8], v[7:8], v[3:4], v[17:18]
	v_fma_f64 v[5:6], v[3:4], v[9:10], -v[5:6]
	v_mul_f64 v[3:4], v[7:8], s[0:1]
	v_mul_f64 v[5:6], v[5:6], s[0:1]
	v_mov_b32_e32 v8, s3
	v_add_co_u32_e32 v7, vcc, s2, v15
	v_addc_co_u32_e32 v8, vcc, v16, v8, vcc
	v_add_co_u32_e32 v15, vcc, s2, v7
	global_store_dwordx4 v[7:8], v[3:6], off
	global_load_dwordx4 v[3:6], v227, s[12:13] offset:672
	s_waitcnt vmcnt(0) lgkmcnt(0)
	v_mul_f64 v[9:10], v[13:14], v[5:6]
	v_mul_f64 v[5:6], v[11:12], v[5:6]
	v_fma_f64 v[9:10], v[11:12], v[3:4], v[9:10]
	v_fma_f64 v[5:6], v[3:4], v[13:14], -v[5:6]
	v_mul_f64 v[3:4], v[9:10], s[0:1]
	v_mul_f64 v[5:6], v[5:6], s[0:1]
	v_mov_b32_e32 v9, s3
	v_addc_co_u32_e32 v16, vcc, v8, v9, vcc
	global_store_dwordx4 v[15:16], v[3:6], off
	global_load_dwordx4 v[3:6], v227, s[12:13] offset:896
	ds_read_b128 v[7:10], v2 offset:896
	ds_read_b128 v[11:14], v2 offset:1120
	s_waitcnt vmcnt(0) lgkmcnt(1)
	v_mul_f64 v[17:18], v[9:10], v[5:6]
	v_mul_f64 v[5:6], v[7:8], v[5:6]
	v_fma_f64 v[7:8], v[7:8], v[3:4], v[17:18]
	v_fma_f64 v[5:6], v[3:4], v[9:10], -v[5:6]
	v_mul_f64 v[3:4], v[7:8], s[0:1]
	v_mul_f64 v[5:6], v[5:6], s[0:1]
	v_mov_b32_e32 v8, s3
	v_add_co_u32_e32 v7, vcc, s2, v15
	v_addc_co_u32_e32 v8, vcc, v16, v8, vcc
	v_add_co_u32_e32 v15, vcc, s2, v7
	global_store_dwordx4 v[7:8], v[3:6], off
	global_load_dwordx4 v[3:6], v227, s[12:13] offset:1120
	;; [unrolled: 26-line block ×3, first 2 shown]
	s_waitcnt vmcnt(0) lgkmcnt(0)
	v_mul_f64 v[9:10], v[13:14], v[5:6]
	v_mul_f64 v[5:6], v[11:12], v[5:6]
	v_fma_f64 v[9:10], v[11:12], v[3:4], v[9:10]
	v_fma_f64 v[5:6], v[3:4], v[13:14], -v[5:6]
	v_mul_f64 v[3:4], v[9:10], s[0:1]
	v_mul_f64 v[5:6], v[5:6], s[0:1]
	v_mov_b32_e32 v9, s3
	v_addc_co_u32_e32 v16, vcc, v8, v9, vcc
	global_store_dwordx4 v[15:16], v[3:6], off
	global_load_dwordx4 v[3:6], v227, s[12:13] offset:1792
	ds_read_b128 v[7:10], v2 offset:1792
	ds_read_b128 v[11:14], v2 offset:2016
	s_waitcnt vmcnt(0) lgkmcnt(1)
	v_mul_f64 v[17:18], v[9:10], v[5:6]
	v_mul_f64 v[5:6], v[7:8], v[5:6]
	v_fma_f64 v[7:8], v[7:8], v[3:4], v[17:18]
	v_fma_f64 v[5:6], v[3:4], v[9:10], -v[5:6]
	v_mov_b32_e32 v3, v20
	v_mad_u64_u32 v[9:10], s[6:7], s5, v21, v[3:4]
	v_mov_b32_e32 v20, v9
	v_mul_f64 v[3:4], v[7:8], s[0:1]
	v_mul_f64 v[5:6], v[5:6], s[0:1]
	v_lshlrev_b64 v[7:8], 4, v[19:20]
	v_add_co_u32_e32 v7, vcc, v0, v7
	v_addc_co_u32_e32 v8, vcc, v1, v8, vcc
	global_store_dwordx4 v[7:8], v[3:6], off
	global_load_dwordx4 v[3:6], v227, s[12:13] offset:2016
	s_waitcnt vmcnt(0) lgkmcnt(0)
	v_mul_f64 v[7:8], v[13:14], v[5:6]
	v_mul_f64 v[5:6], v[11:12], v[5:6]
	v_fma_f64 v[7:8], v[11:12], v[3:4], v[7:8]
	v_fma_f64 v[5:6], v[3:4], v[13:14], -v[5:6]
	v_mul_f64 v[3:4], v[7:8], s[0:1]
	v_mul_f64 v[5:6], v[5:6], s[0:1]
	v_mov_b32_e32 v7, 0x1c0
	v_mad_u64_u32 v[15:16], s[6:7], s4, v7, v[15:16]
	s_mul_i32 s6, s5, 0x1c0
	v_add_u32_e32 v16, s6, v16
	global_store_dwordx4 v[15:16], v[3:6], off
	global_load_dwordx4 v[3:6], v227, s[12:13] offset:2240
	ds_read_b128 v[7:10], v2 offset:2240
	ds_read_b128 v[11:14], v2 offset:2464
	s_waitcnt vmcnt(0) lgkmcnt(1)
	v_mul_f64 v[17:18], v[9:10], v[5:6]
	v_mul_f64 v[5:6], v[7:8], v[5:6]
	v_fma_f64 v[7:8], v[7:8], v[3:4], v[17:18]
	v_fma_f64 v[5:6], v[3:4], v[9:10], -v[5:6]
	v_mul_f64 v[3:4], v[7:8], s[0:1]
	v_mul_f64 v[5:6], v[5:6], s[0:1]
	v_mov_b32_e32 v8, s3
	v_add_co_u32_e32 v7, vcc, s2, v15
	v_addc_co_u32_e32 v8, vcc, v16, v8, vcc
	v_add_co_u32_e32 v15, vcc, s2, v7
	global_store_dwordx4 v[7:8], v[3:6], off
	global_load_dwordx4 v[3:6], v227, s[12:13] offset:2464
	s_waitcnt vmcnt(0) lgkmcnt(0)
	v_mul_f64 v[9:10], v[13:14], v[5:6]
	v_mul_f64 v[5:6], v[11:12], v[5:6]
	v_fma_f64 v[9:10], v[11:12], v[3:4], v[9:10]
	v_fma_f64 v[5:6], v[3:4], v[13:14], -v[5:6]
	v_mul_f64 v[3:4], v[9:10], s[0:1]
	v_mul_f64 v[5:6], v[5:6], s[0:1]
	v_mov_b32_e32 v9, s3
	v_addc_co_u32_e32 v16, vcc, v8, v9, vcc
	global_store_dwordx4 v[15:16], v[3:6], off
	global_load_dwordx4 v[3:6], v227, s[12:13] offset:2688
	ds_read_b128 v[7:10], v2 offset:2688
	ds_read_b128 v[11:14], v2 offset:2912
	s_waitcnt vmcnt(0) lgkmcnt(1)
	v_mul_f64 v[17:18], v[9:10], v[5:6]
	v_mul_f64 v[5:6], v[7:8], v[5:6]
	v_fma_f64 v[7:8], v[7:8], v[3:4], v[17:18]
	v_fma_f64 v[5:6], v[3:4], v[9:10], -v[5:6]
	v_mul_f64 v[3:4], v[7:8], s[0:1]
	v_mul_f64 v[5:6], v[5:6], s[0:1]
	v_mov_b32_e32 v8, s3
	v_add_co_u32_e32 v7, vcc, s2, v15
	v_addc_co_u32_e32 v8, vcc, v16, v8, vcc
	v_add_co_u32_e32 v15, vcc, s2, v7
	global_store_dwordx4 v[7:8], v[3:6], off
	global_load_dwordx4 v[3:6], v227, s[12:13] offset:2912
	s_waitcnt vmcnt(0) lgkmcnt(0)
	v_mul_f64 v[9:10], v[13:14], v[5:6]
	v_mul_f64 v[5:6], v[11:12], v[5:6]
	v_fma_f64 v[9:10], v[11:12], v[3:4], v[9:10]
	v_fma_f64 v[5:6], v[3:4], v[13:14], -v[5:6]
	v_mul_f64 v[3:4], v[9:10], s[0:1]
	v_mul_f64 v[5:6], v[5:6], s[0:1]
	v_mov_b32_e32 v9, s3
	v_addc_co_u32_e32 v16, vcc, v8, v9, vcc
	global_store_dwordx4 v[15:16], v[3:6], off
	global_load_dwordx4 v[3:6], v227, s[12:13] offset:3136
	ds_read_b128 v[7:10], v2 offset:3136
	ds_read_b128 v[11:14], v2 offset:3360
	s_waitcnt vmcnt(0) lgkmcnt(1)
	v_mul_f64 v[17:18], v[9:10], v[5:6]
	v_mul_f64 v[5:6], v[7:8], v[5:6]
	v_fma_f64 v[7:8], v[7:8], v[3:4], v[17:18]
	v_fma_f64 v[5:6], v[3:4], v[9:10], -v[5:6]
	v_mul_f64 v[3:4], v[7:8], s[0:1]
	v_mul_f64 v[5:6], v[5:6], s[0:1]
	v_mov_b32_e32 v8, s3
	v_add_co_u32_e32 v7, vcc, s2, v15
	v_addc_co_u32_e32 v8, vcc, v16, v8, vcc
	global_store_dwordx4 v[7:8], v[3:6], off
	global_load_dwordx4 v[3:6], v227, s[12:13] offset:3360
	v_add_co_u32_e32 v7, vcc, s2, v7
	s_waitcnt vmcnt(0) lgkmcnt(0)
	v_mul_f64 v[9:10], v[13:14], v[5:6]
	v_mul_f64 v[5:6], v[11:12], v[5:6]
	v_fma_f64 v[9:10], v[11:12], v[3:4], v[9:10]
	v_fma_f64 v[5:6], v[3:4], v[13:14], -v[5:6]
	v_or_b32_e32 v13, 0xe0, v255
	v_mul_f64 v[3:4], v[9:10], s[0:1]
	v_mul_f64 v[5:6], v[5:6], s[0:1]
	v_mov_b32_e32 v9, s3
	v_addc_co_u32_e32 v8, vcc, v8, v9, vcc
	global_store_dwordx4 v[7:8], v[3:6], off
	global_load_dwordx4 v[3:6], v227, s[12:13] offset:3584
	ds_read_b128 v[7:10], v2 offset:3584
	s_waitcnt vmcnt(0) lgkmcnt(0)
	v_mul_f64 v[11:12], v[9:10], v[5:6]
	v_mul_f64 v[5:6], v[7:8], v[5:6]
	v_fma_f64 v[7:8], v[7:8], v[3:4], v[11:12]
	v_fma_f64 v[4:5], v[3:4], v[9:10], -v[5:6]
	v_mad_u64_u32 v[9:10], s[2:3], s4, v13, 0
	v_mov_b32_e32 v2, v10
	v_mad_u64_u32 v[10:11], s[2:3], s5, v13, v[2:3]
	v_mul_f64 v[2:3], v[7:8], s[0:1]
	v_mul_f64 v[4:5], v[4:5], s[0:1]
	v_lshlrev_b64 v[6:7], 4, v[9:10]
	v_add_co_u32_e32 v0, vcc, v0, v6
	v_addc_co_u32_e32 v1, vcc, v1, v7, vcc
	global_store_dwordx4 v[0:1], v[2:5], off
.LBB0_15:
	s_endpgm
	.section	.rodata,"a",@progbits
	.p2align	6, 0x0
	.amdhsa_kernel bluestein_single_fwd_len238_dim1_dp_op_CI_CI
		.amdhsa_group_segment_fixed_size 11424
		.amdhsa_private_segment_fixed_size 236
		.amdhsa_kernarg_size 104
		.amdhsa_user_sgpr_count 6
		.amdhsa_user_sgpr_private_segment_buffer 1
		.amdhsa_user_sgpr_dispatch_ptr 0
		.amdhsa_user_sgpr_queue_ptr 0
		.amdhsa_user_sgpr_kernarg_segment_ptr 1
		.amdhsa_user_sgpr_dispatch_id 0
		.amdhsa_user_sgpr_flat_scratch_init 0
		.amdhsa_user_sgpr_private_segment_size 0
		.amdhsa_uses_dynamic_stack 0
		.amdhsa_system_sgpr_private_segment_wavefront_offset 1
		.amdhsa_system_sgpr_workgroup_id_x 1
		.amdhsa_system_sgpr_workgroup_id_y 0
		.amdhsa_system_sgpr_workgroup_id_z 0
		.amdhsa_system_sgpr_workgroup_info 0
		.amdhsa_system_vgpr_workitem_id 0
		.amdhsa_next_free_vgpr 256
		.amdhsa_next_free_sgpr 64
		.amdhsa_reserve_vcc 1
		.amdhsa_reserve_flat_scratch 0
		.amdhsa_float_round_mode_32 0
		.amdhsa_float_round_mode_16_64 0
		.amdhsa_float_denorm_mode_32 3
		.amdhsa_float_denorm_mode_16_64 3
		.amdhsa_dx10_clamp 1
		.amdhsa_ieee_mode 1
		.amdhsa_fp16_overflow 0
		.amdhsa_exception_fp_ieee_invalid_op 0
		.amdhsa_exception_fp_denorm_src 0
		.amdhsa_exception_fp_ieee_div_zero 0
		.amdhsa_exception_fp_ieee_overflow 0
		.amdhsa_exception_fp_ieee_underflow 0
		.amdhsa_exception_fp_ieee_inexact 0
		.amdhsa_exception_int_div_zero 0
	.end_amdhsa_kernel
	.text
.Lfunc_end0:
	.size	bluestein_single_fwd_len238_dim1_dp_op_CI_CI, .Lfunc_end0-bluestein_single_fwd_len238_dim1_dp_op_CI_CI
                                        ; -- End function
	.section	.AMDGPU.csdata,"",@progbits
; Kernel info:
; codeLenInByte = 25152
; NumSgprs: 68
; NumVgprs: 256
; ScratchSize: 236
; MemoryBound: 0
; FloatMode: 240
; IeeeMode: 1
; LDSByteSize: 11424 bytes/workgroup (compile time only)
; SGPRBlocks: 8
; VGPRBlocks: 63
; NumSGPRsForWavesPerEU: 68
; NumVGPRsForWavesPerEU: 256
; Occupancy: 1
; WaveLimiterHint : 1
; COMPUTE_PGM_RSRC2:SCRATCH_EN: 1
; COMPUTE_PGM_RSRC2:USER_SGPR: 6
; COMPUTE_PGM_RSRC2:TRAP_HANDLER: 0
; COMPUTE_PGM_RSRC2:TGID_X_EN: 1
; COMPUTE_PGM_RSRC2:TGID_Y_EN: 0
; COMPUTE_PGM_RSRC2:TGID_Z_EN: 0
; COMPUTE_PGM_RSRC2:TIDIG_COMP_CNT: 0
	.type	__hip_cuid_ca81736a93ca22fb,@object ; @__hip_cuid_ca81736a93ca22fb
	.section	.bss,"aw",@nobits
	.globl	__hip_cuid_ca81736a93ca22fb
__hip_cuid_ca81736a93ca22fb:
	.byte	0                               ; 0x0
	.size	__hip_cuid_ca81736a93ca22fb, 1

	.ident	"AMD clang version 19.0.0git (https://github.com/RadeonOpenCompute/llvm-project roc-6.4.0 25133 c7fe45cf4b819c5991fe208aaa96edf142730f1d)"
	.section	".note.GNU-stack","",@progbits
	.addrsig
	.addrsig_sym __hip_cuid_ca81736a93ca22fb
	.amdgpu_metadata
---
amdhsa.kernels:
  - .args:
      - .actual_access:  read_only
        .address_space:  global
        .offset:         0
        .size:           8
        .value_kind:     global_buffer
      - .actual_access:  read_only
        .address_space:  global
        .offset:         8
        .size:           8
        .value_kind:     global_buffer
      - .actual_access:  read_only
        .address_space:  global
        .offset:         16
        .size:           8
        .value_kind:     global_buffer
      - .actual_access:  read_only
        .address_space:  global
        .offset:         24
        .size:           8
        .value_kind:     global_buffer
      - .actual_access:  read_only
        .address_space:  global
        .offset:         32
        .size:           8
        .value_kind:     global_buffer
      - .offset:         40
        .size:           8
        .value_kind:     by_value
      - .address_space:  global
        .offset:         48
        .size:           8
        .value_kind:     global_buffer
      - .address_space:  global
        .offset:         56
        .size:           8
        .value_kind:     global_buffer
      - .address_space:  global
        .offset:         64
        .size:           8
        .value_kind:     global_buffer
      - .address_space:  global
        .offset:         72
        .size:           8
        .value_kind:     global_buffer
      - .offset:         80
        .size:           4
        .value_kind:     by_value
      - .address_space:  global
        .offset:         88
        .size:           8
        .value_kind:     global_buffer
      - .address_space:  global
        .offset:         96
        .size:           8
        .value_kind:     global_buffer
    .group_segment_fixed_size: 11424
    .kernarg_segment_align: 8
    .kernarg_segment_size: 104
    .language:       OpenCL C
    .language_version:
      - 2
      - 0
    .max_flat_workgroup_size: 51
    .name:           bluestein_single_fwd_len238_dim1_dp_op_CI_CI
    .private_segment_fixed_size: 236
    .sgpr_count:     68
    .sgpr_spill_count: 0
    .symbol:         bluestein_single_fwd_len238_dim1_dp_op_CI_CI.kd
    .uniform_work_group_size: 1
    .uses_dynamic_stack: false
    .vgpr_count:     256
    .vgpr_spill_count: 83
    .wavefront_size: 64
amdhsa.target:   amdgcn-amd-amdhsa--gfx906
amdhsa.version:
  - 1
  - 2
...

	.end_amdgpu_metadata
